;; amdgpu-corpus repo=ROCm/rocFFT kind=compiled arch=gfx1030 opt=O3
	.text
	.amdgcn_target "amdgcn-amd-amdhsa--gfx1030"
	.amdhsa_code_object_version 6
	.protected	bluestein_single_fwd_len1575_dim1_dp_op_CI_CI ; -- Begin function bluestein_single_fwd_len1575_dim1_dp_op_CI_CI
	.globl	bluestein_single_fwd_len1575_dim1_dp_op_CI_CI
	.p2align	8
	.type	bluestein_single_fwd_len1575_dim1_dp_op_CI_CI,@function
bluestein_single_fwd_len1575_dim1_dp_op_CI_CI: ; @bluestein_single_fwd_len1575_dim1_dp_op_CI_CI
; %bb.0:
	s_load_dwordx4 s[8:11], s[4:5], 0x28
	v_mul_u32_u24_e32 v1, 0x411, v0
	s_mov_b64 s[38:39], s[2:3]
	s_mov_b64 s[36:37], s[0:1]
	v_mov_b32_e32 v14, 0
	s_add_u32 s36, s36, s7
	v_lshrrev_b32_e32 v1, 16, v1
	s_addc_u32 s37, s37, 0
	s_mov_b32 s0, exec_lo
	v_add_nc_u32_e32 v13, s6, v1
	s_waitcnt lgkmcnt(0)
	v_cmpx_gt_u64_e64 s[8:9], v[13:14]
	s_cbranch_execz .LBB0_31
; %bb.1:
	s_clause 0x1
	s_load_dwordx4 s[0:3], s[4:5], 0x18
	s_load_dwordx2 s[6:7], s[4:5], 0x0
	v_mul_lo_u16 v1, v1, 63
	v_mov_b32_e32 v14, v13
	v_sub_nc_u16 v2, v0, v1
	v_and_b32_e32 v163, 0xffff, v2
	v_lshlrev_b32_e32 v156, 4, v163
	s_waitcnt lgkmcnt(0)
	s_load_dwordx4 s[12:15], s[0:1], 0x0
	s_clause 0x2
	global_load_dwordx4 v[119:122], v156, s[6:7]
	global_load_dwordx4 v[172:175], v156, s[6:7] offset:1008
	global_load_dwordx4 v[125:128], v156, s[6:7] offset:2016
	v_add_co_u32 v157, s0, s6, v156
	v_add_co_ci_u32_e64 v158, null, s7, 0, s0
	buffer_store_dword v14, off, s[36:39], 0 offset:60 ; 4-byte Folded Spill
	buffer_store_dword v15, off, s[36:39], 0 offset:64 ; 4-byte Folded Spill
	v_add_co_u32 v0, vcc_lo, 0x2000, v157
	v_add_co_ci_u32_e32 v1, vcc_lo, 0, v158, vcc_lo
	v_add_co_u32 v16, vcc_lo, 0x4000, v157
	v_add_co_ci_u32_e32 v17, vcc_lo, 0, v158, vcc_lo
	;; [unrolled: 2-line block ×3, first 2 shown]
	s_clause 0x2
	global_load_dwordx4 v[216:219], v[16:17], off offset:416
	global_load_dwordx4 v[220:223], v[0:1], off offset:208
	;; [unrolled: 1-line block ×3, first 2 shown]
	buffer_store_dword v16, off, s[36:39], 0 offset:20 ; 4-byte Folded Spill
	buffer_store_dword v17, off, s[36:39], 0 offset:24 ; 4-byte Folded Spill
	s_waitcnt lgkmcnt(0)
	v_mad_u64_u32 v[5:6], null, s14, v13, 0
	v_add_co_u32 v7, vcc_lo, 0x4800, v157
	v_mad_u64_u32 v[9:10], null, s12, v163, 0
	v_add_co_ci_u32_e32 v8, vcc_lo, 0, v158, vcc_lo
	v_add_co_u32 v11, vcc_lo, 0x800, v157
	v_mad_u64_u32 v[13:14], null, s15, v13, v[6:7]
	v_add_co_ci_u32_e32 v12, vcc_lo, 0, v158, vcc_lo
	v_mad_u64_u32 v[14:15], null, s13, v163, v[10:11]
	v_add_co_u32 v71, vcc_lo, 0x3000, v157
	v_mov_b32_e32 v6, v13
	v_add_co_ci_u32_e32 v72, vcc_lo, 0, v158, vcc_lo
	s_mul_i32 s1, s13, 0x20d
	v_mov_b32_e32 v10, v14
	v_lshlrev_b64 v[0:1], 4, v[5:6]
	s_mul_hi_u32 s7, s12, 0x20d
	s_mul_i32 s0, s12, 0x20d
	s_mul_hi_u32 s9, s12, 0xfffffc25
	v_lshlrev_b64 v[5:6], 4, v[9:10]
	s_add_i32 s1, s7, s1
	v_add_co_u32 v0, vcc_lo, s10, v0
	v_add_co_ci_u32_e32 v1, vcc_lo, s11, v1, vcc_lo
	s_mul_i32 s8, s13, 0xfffffc25
	v_add_co_u32 v0, vcc_lo, v0, v5
	v_add_co_ci_u32_e32 v1, vcc_lo, v1, v6, vcc_lo
	s_mul_i32 s6, s12, 0xfffffc25
	s_sub_i32 s7, s9, s12
	s_lshl_b64 s[12:13], s[0:1], 4
	s_add_i32 s7, s7, s8
	v_add_co_u32 v9, vcc_lo, v0, s12
	v_add_co_ci_u32_e32 v10, vcc_lo, s13, v1, vcc_lo
	s_lshl_b64 s[0:1], s[6:7], 4
	v_add_co_u32 v13, vcc_lo, v9, s12
	v_add_co_ci_u32_e32 v14, vcc_lo, s13, v10, vcc_lo
	s_load_dwordx2 s[6:7], s[4:5], 0x38
	v_add_co_u32 v15, vcc_lo, v13, s0
	global_load_dwordx4 v[188:191], v[16:17], off offset:1424
	v_add_co_ci_u32_e32 v16, vcc_lo, s1, v14, vcc_lo
	v_add_co_u32 v19, vcc_lo, v15, s12
	s_clause 0x1
	global_load_dwordx4 v[200:203], v[3:4], off offset:176
	global_load_dwordx4 v[137:140], v[3:4], off offset:1184
	v_add_co_ci_u32_e32 v20, vcc_lo, s13, v16, vcc_lo
	v_add_co_u32 v23, vcc_lo, v19, s12
	s_clause 0x1
	global_load_dwordx4 v[204:207], v[7:8], off offset:384
	;; [unrolled: 5-line block ×3, first 2 shown]
	global_load_dwordx4 v[133:136], v[11:12], off offset:1984
	v_add_co_ci_u32_e32 v28, vcc_lo, s1, v24, vcc_lo
	s_clause 0x1
	global_load_dwordx4 v[3:6], v[0:1], off
	global_load_dwordx4 v[7:10], v[9:10], off
	v_add_co_u32 v0, vcc_lo, v27, s12
	v_add_co_ci_u32_e32 v1, vcc_lo, s13, v28, vcc_lo
	s_clause 0x1
	global_load_dwordx4 v[11:14], v[13:14], off
	global_load_dwordx4 v[15:18], v[15:16], off
	v_add_co_u32 v35, vcc_lo, v0, s12
	v_add_co_ci_u32_e32 v36, vcc_lo, s13, v1, vcc_lo
	global_load_dwordx4 v[31:34], v[0:1], off
	v_add_co_u32 v39, vcc_lo, v35, s0
	v_add_co_ci_u32_e32 v40, vcc_lo, s1, v36, vcc_lo
	;; [unrolled: 3-line block ×7, first 2 shown]
	global_load_dwordx4 v[43:46], v[43:44], off
	global_load_dwordx4 v[47:50], v[47:48], off
	;; [unrolled: 1-line block ×5, first 2 shown]
	v_add_co_u32 v0, vcc_lo, v63, s0
	v_add_co_ci_u32_e32 v1, vcc_lo, s1, v64, vcc_lo
	v_add_co_u32 v75, vcc_lo, 0x5000, v157
	v_add_co_ci_u32_e32 v76, vcc_lo, 0, v158, vcc_lo
	global_load_dwordx4 v[63:66], v[0:1], off
	v_add_co_u32 v0, vcc_lo, v0, s12
	v_add_co_ci_u32_e32 v1, vcc_lo, s13, v1, vcc_lo
	v_add_co_u32 v79, vcc_lo, 0x1000, v157
	v_add_co_ci_u32_e32 v80, vcc_lo, 0, v158, vcc_lo
	;; [unrolled: 2-line block ×3, first 2 shown]
	global_load_dwordx4 v[67:70], v[0:1], off
	v_add_co_u32 v0, vcc_lo, v73, s0
	v_add_co_ci_u32_e32 v1, vcc_lo, s1, v74, vcc_lo
	s_clause 0x1
	global_load_dwordx4 v[208:211], v[71:72], off offset:144
	global_load_dwordx4 v[151:154], v[71:72], off offset:1152
	global_load_dwordx4 v[71:74], v[73:74], off
	s_clause 0x1
	global_load_dwordx4 v[196:199], v[75:76], off offset:352
	global_load_dwordx4 v[147:150], v[75:76], off offset:1360
	global_load_dwordx4 v[75:78], v[0:1], off
	s_clause 0x1
	global_load_dwordx4 v[192:195], v[79:80], off offset:944
	global_load_dwordx4 v[143:146], v[79:80], off offset:1952
	v_add_co_u32 v0, vcc_lo, v0, s12
	v_add_co_ci_u32_e32 v1, vcc_lo, s13, v1, vcc_lo
	v_add_co_u32 v95, vcc_lo, 0x3800, v157
	v_add_co_ci_u32_e32 v96, vcc_lo, 0, v158, vcc_lo
	;; [unrolled: 2-line block ×5, first 2 shown]
	global_load_dwordx4 v[79:82], v[0:1], off
	global_load_dwordx4 v[168:171], v[95:96], off offset:112
	global_load_dwordx4 v[83:86], v[83:84], off
	global_load_dwordx4 v[164:167], v[97:98], off offset:320
	global_load_dwordx4 v[87:90], v[91:92], off
	v_add_co_u32 v91, vcc_lo, v91, s12
	v_add_co_ci_u32_e32 v92, vcc_lo, s13, v92, vcc_lo
	v_add_co_u32 v93, vcc_lo, 0x1800, v157
	v_add_co_ci_u32_e32 v94, vcc_lo, 0, v158, vcc_lo
	buffer_store_dword v93, off, s[36:39], 0 offset:148 ; 4-byte Folded Spill
	buffer_store_dword v94, off, s[36:39], 0 offset:152 ; 4-byte Folded Spill
	v_add_co_u32 v0, vcc_lo, v91, s12
	v_add_co_ci_u32_e32 v1, vcc_lo, s13, v92, vcc_lo
	v_cmp_gt_u16_e32 vcc_lo, 21, v2
	global_load_dwordx4 v[176:179], v[93:94], off offset:912
	global_load_dwordx4 v[91:94], v[91:92], off
	s_clause 0x1
	global_load_dwordx4 v[180:183], v[95:96], off offset:1120
	global_load_dwordx4 v[184:187], v[97:98], off offset:1328
	global_load_dwordx4 v[95:98], v[0:1], off
	s_waitcnt vmcnt(34)
	v_mul_f64 v[99:100], v[5:6], v[121:122]
	v_mul_f64 v[101:102], v[3:4], v[121:122]
	s_waitcnt vmcnt(33)
	v_mul_f64 v[103:104], v[9:10], v[222:223]
	v_mul_f64 v[105:106], v[7:8], v[222:223]
	s_waitcnt vmcnt(32)
	v_mul_f64 v[107:108], v[13:14], v[218:219]
	s_waitcnt vmcnt(31)
	;; [unrolled: 2-line block ×3, first 2 shown]
	v_mul_f64 v[115:116], v[21:22], v[214:215]
	v_mul_f64 v[109:110], v[11:12], v[218:219]
	;; [unrolled: 1-line block ×4, first 2 shown]
	s_waitcnt vmcnt(22)
	v_mul_f64 v[123:124], v[51:52], v[135:136]
	v_fma_f64 v[3:4], v[3:4], v[119:120], v[99:100]
	buffer_store_dword v119, off, s[36:39], 0 offset:172 ; 4-byte Folded Spill
	buffer_store_dword v120, off, s[36:39], 0 offset:176 ; 4-byte Folded Spill
	;; [unrolled: 1-line block ×4, first 2 shown]
	s_load_dwordx4 s[8:11], s[2:3], 0x0
	v_fma_f64 v[7:8], v[7:8], v[220:221], v[103:104]
	buffer_store_dword v220, off, s[36:39], 0 offset:412 ; 4-byte Folded Spill
	buffer_store_dword v221, off, s[36:39], 0 offset:416 ; 4-byte Folded Spill
	;; [unrolled: 1-line block ×4, first 2 shown]
	v_mul_f64 v[99:100], v[25:26], v[190:191]
	v_fma_f64 v[11:12], v[11:12], v[216:217], v[107:108]
	buffer_store_dword v216, off, s[36:39], 0 offset:396 ; 4-byte Folded Spill
	buffer_store_dword v217, off, s[36:39], 0 offset:400 ; 4-byte Folded Spill
	buffer_store_dword v218, off, s[36:39], 0 offset:404 ; 4-byte Folded Spill
	buffer_store_dword v219, off, s[36:39], 0 offset:408 ; 4-byte Folded Spill
	v_fma_f64 v[15:16], v[15:16], v[172:173], v[111:112]
	buffer_store_dword v172, off, s[36:39], 0 offset:220 ; 4-byte Folded Spill
	buffer_store_dword v173, off, s[36:39], 0 offset:224 ; 4-byte Folded Spill
	buffer_store_dword v174, off, s[36:39], 0 offset:228 ; 4-byte Folded Spill
	buffer_store_dword v175, off, s[36:39], 0 offset:232 ; 4-byte Folded Spill
	;; [unrolled: 5-line block ×3, first 2 shown]
	v_mul_f64 v[103:104], v[29:30], v[127:128]
	v_mul_f64 v[107:108], v[33:34], v[202:203]
	;; [unrolled: 1-line block ×5, first 2 shown]
	s_waitcnt vmcnt(0)
	v_mul_f64 v[141:142], v[95:96], v[186:187]
	v_fma_f64 v[5:6], v[5:6], v[119:120], -v[101:102]
	v_mul_f64 v[101:102], v[23:24], v[190:191]
	v_mul_f64 v[119:120], v[35:36], v[206:207]
	v_fma_f64 v[9:10], v[9:10], v[220:221], -v[105:106]
	v_mul_f64 v[105:106], v[27:28], v[127:128]
	v_fma_f64 v[13:14], v[13:14], v[216:217], -v[109:110]
	;; [unrolled: 2-line block ×4, first 2 shown]
	v_mul_f64 v[117:118], v[45:46], v[139:140]
	ds_write_b128 v156, v[3:6]
	v_fma_f64 v[3:4], v[23:24], v[188:189], v[99:100]
	buffer_store_dword v188, off, s[36:39], 0 offset:284 ; 4-byte Folded Spill
	buffer_store_dword v189, off, s[36:39], 0 offset:288 ; 4-byte Folded Spill
	buffer_store_dword v190, off, s[36:39], 0 offset:292 ; 4-byte Folded Spill
	buffer_store_dword v191, off, s[36:39], 0 offset:296 ; 4-byte Folded Spill
	v_mul_f64 v[99:100], v[49:50], v[131:132]
	ds_write_b128 v156, v[7:10] offset:8400
	v_fma_f64 v[7:8], v[27:28], v[125:126], v[103:104]
	v_mul_f64 v[103:104], v[53:54], v[135:136]
	buffer_store_dword v125, off, s[36:39], 0 offset:28 ; 4-byte Folded Spill
	buffer_store_dword v126, off, s[36:39], 0 offset:32 ; 4-byte Folded Spill
	;; [unrolled: 1-line block ×4, first 2 shown]
	ds_write_b128 v156, v[11:14] offset:16800
	v_fma_f64 v[11:12], v[31:32], v[200:201], v[107:108]
	buffer_store_dword v200, off, s[36:39], 0 offset:332 ; 4-byte Folded Spill
	buffer_store_dword v201, off, s[36:39], 0 offset:336 ; 4-byte Folded Spill
	buffer_store_dword v202, off, s[36:39], 0 offset:340 ; 4-byte Folded Spill
	buffer_store_dword v203, off, s[36:39], 0 offset:344 ; 4-byte Folded Spill
	v_fma_f64 v[23:24], v[35:36], v[204:205], v[111:112]
	buffer_store_dword v204, off, s[36:39], 0 offset:348 ; 4-byte Folded Spill
	buffer_store_dword v205, off, s[36:39], 0 offset:352 ; 4-byte Folded Spill
	buffer_store_dword v206, off, s[36:39], 0 offset:356 ; 4-byte Folded Spill
	buffer_store_dword v207, off, s[36:39], 0 offset:360 ; 4-byte Folded Spill
	;; [unrolled: 5-line block ×4, first 2 shown]
	v_mul_f64 v[113:114], v[65:66], v[194:195]
	v_mul_f64 v[127:128], v[85:86], v[166:167]
	;; [unrolled: 1-line block ×6, first 2 shown]
	v_fma_f64 v[35:36], v[47:48], v[129:130], v[99:100]
	v_mul_f64 v[99:100], v[69:70], v[153:154]
	v_fma_f64 v[39:40], v[51:52], v[133:134], v[103:104]
	v_mul_f64 v[103:104], v[73:74], v[149:150]
	v_fma_f64 v[51:52], v[63:64], v[192:193], v[113:114]
	v_fma_f64 v[5:6], v[25:26], v[188:189], -v[101:102]
	v_mul_f64 v[101:102], v[47:48], v[131:132]
	buffer_store_dword v129, off, s[36:39], 0 offset:100 ; 4-byte Folded Spill
	buffer_store_dword v130, off, s[36:39], 0 offset:104 ; 4-byte Folded Spill
	;; [unrolled: 1-line block ×8, first 2 shown]
	v_mul_f64 v[131:132], v[89:90], v[178:179]
	v_fma_f64 v[9:10], v[29:30], v[125:126], -v[105:106]
	v_mul_f64 v[105:106], v[57:58], v[210:211]
	v_mul_f64 v[135:136], v[93:94], v[182:183]
	v_fma_f64 v[13:14], v[33:34], v[200:201], -v[109:110]
	v_mul_f64 v[109:110], v[61:62], v[198:199]
	v_fma_f64 v[25:26], v[37:38], v[204:205], -v[119:120]
	;; [unrolled: 2-line block ×4, first 2 shown]
	v_mul_f64 v[121:122], v[75:76], v[145:146]
	v_mul_f64 v[125:126], v[79:80], v[170:171]
	;; [unrolled: 1-line block ×3, first 2 shown]
	v_fma_f64 v[43:44], v[55:56], v[208:209], v[105:106]
	buffer_store_dword v208, off, s[36:39], 0 offset:364 ; 4-byte Folded Spill
	buffer_store_dword v209, off, s[36:39], 0 offset:368 ; 4-byte Folded Spill
	;; [unrolled: 1-line block ×4, first 2 shown]
	v_fma_f64 v[55:56], v[67:68], v[151:152], v[99:100]
	v_fma_f64 v[47:48], v[59:60], v[196:197], v[109:110]
	buffer_store_dword v196, off, s[36:39], 0 offset:316 ; 4-byte Folded Spill
	buffer_store_dword v197, off, s[36:39], 0 offset:320 ; 4-byte Folded Spill
	;; [unrolled: 1-line block ×8, first 2 shown]
	v_fma_f64 v[59:60], v[71:72], v[147:148], v[103:104]
	v_fma_f64 v[63:64], v[75:76], v[143:144], v[119:120]
	v_fma_f64 v[71:72], v[83:84], v[164:165], v[127:128]
	v_fma_f64 v[75:76], v[87:88], v[176:177], v[131:132]
	v_fma_f64 v[37:38], v[49:50], v[129:130], -v[101:102]
	v_fma_f64 v[41:42], v[53:54], v[133:134], -v[123:124]
	v_mul_f64 v[123:124], v[81:82], v[170:171]
	v_mul_f64 v[101:102], v[67:68], v[153:154]
	;; [unrolled: 1-line block ×3, first 2 shown]
	buffer_store_dword v151, off, s[36:39], 0 offset:84 ; 4-byte Folded Spill
	buffer_store_dword v152, off, s[36:39], 0 offset:88 ; 4-byte Folded Spill
	;; [unrolled: 1-line block ×12, first 2 shown]
	v_mul_f64 v[133:134], v[87:88], v[178:179]
	v_fma_f64 v[83:84], v[95:96], v[184:185], v[139:140]
	v_fma_f64 v[67:68], v[79:80], v[168:169], v[123:124]
	buffer_store_dword v168, off, s[36:39], 0 offset:204 ; 4-byte Folded Spill
	buffer_store_dword v169, off, s[36:39], 0 offset:208 ; 4-byte Folded Spill
	;; [unrolled: 1-line block ×12, first 2 shown]
	v_fma_f64 v[79:80], v[91:92], v[180:181], v[135:136]
	buffer_store_dword v180, off, s[36:39], 0 offset:252 ; 4-byte Folded Spill
	buffer_store_dword v181, off, s[36:39], 0 offset:256 ; 4-byte Folded Spill
	;; [unrolled: 1-line block ×8, first 2 shown]
	v_fma_f64 v[49:50], v[61:62], v[196:197], -v[111:112]
	v_fma_f64 v[53:54], v[65:66], v[192:193], -v[115:116]
	v_fma_f64 v[45:46], v[57:58], v[208:209], -v[107:108]
	v_fma_f64 v[57:58], v[69:70], v[151:152], -v[101:102]
	v_fma_f64 v[61:62], v[73:74], v[147:148], -v[117:118]
	v_fma_f64 v[65:66], v[77:78], v[143:144], -v[121:122]
	v_fma_f64 v[69:70], v[81:82], v[168:169], -v[125:126]
	v_fma_f64 v[73:74], v[85:86], v[164:165], -v[129:130]
	v_fma_f64 v[77:78], v[89:90], v[176:177], -v[133:134]
	ds_write_b128 v156, v[15:18] offset:1008
	ds_write_b128 v156, v[19:22] offset:9408
	;; [unrolled: 1-line block ×17, first 2 shown]
	v_fma_f64 v[81:82], v[93:94], v[180:181], -v[137:138]
	v_fma_f64 v[85:86], v[97:98], v[184:185], -v[141:142]
	ds_write_b128 v156, v[71:74] offset:22848
	ds_write_b128 v156, v[75:78] offset:7056
	;; [unrolled: 1-line block ×4, first 2 shown]
	s_and_saveexec_b32 s2, vcc_lo
	s_cbranch_execz .LBB0_3
; %bb.2:
	v_add_co_u32 v4, s0, v0, s0
	v_add_co_ci_u32_e64 v5, s0, s1, v1, s0
	v_add_co_u32 v8, s0, v4, s12
	global_load_dwordx4 v[0:3], v[4:5], off
	v_add_co_ci_u32_e64 v9, s0, s13, v5, s0
	s_clause 0x1
	buffer_load_dword v4, off, s[36:39], 0 offset:148
	buffer_load_dword v5, off, s[36:39], 0 offset:152
	v_add_co_u32 v16, s0, 0x6000, v157
	v_add_co_ci_u32_e64 v17, s0, 0, v158, s0
	v_add_co_u32 v20, s0, v8, s12
	v_add_co_ci_u32_e64 v21, s0, s13, v9, s0
	s_waitcnt vmcnt(0)
	global_load_dwordx4 v[4:7], v[4:5], off offset:1920
	global_load_dwordx4 v[8:11], v[8:9], off
	s_clause 0x1
	buffer_load_dword v12, off, s[36:39], 0 offset:20
	buffer_load_dword v13, off, s[36:39], 0 offset:24
	s_waitcnt vmcnt(0)
	s_clause 0x1
	global_load_dwordx4 v[12:15], v[12:13], off offset:80
	global_load_dwordx4 v[16:19], v[16:17], off offset:288
	global_load_dwordx4 v[20:23], v[20:21], off
	v_mul_f64 v[24:25], v[2:3], v[6:7]
	v_mul_f64 v[6:7], v[0:1], v[6:7]
	v_fma_f64 v[0:1], v[0:1], v[4:5], v[24:25]
	v_fma_f64 v[2:3], v[2:3], v[4:5], -v[6:7]
	s_waitcnt vmcnt(2)
	v_mul_f64 v[26:27], v[10:11], v[14:15]
	v_mul_f64 v[14:15], v[8:9], v[14:15]
	s_waitcnt vmcnt(0)
	v_mul_f64 v[28:29], v[22:23], v[18:19]
	v_mul_f64 v[18:19], v[20:21], v[18:19]
	v_fma_f64 v[4:5], v[8:9], v[12:13], v[26:27]
	v_fma_f64 v[6:7], v[10:11], v[12:13], -v[14:15]
	v_fma_f64 v[8:9], v[20:21], v[16:17], v[28:29]
	v_fma_f64 v[10:11], v[22:23], v[16:17], -v[18:19]
	ds_write_b128 v156, v[0:3] offset:8064
	ds_write_b128 v156, v[4:7] offset:16464
	;; [unrolled: 1-line block ×3, first 2 shown]
.LBB0_3:
	s_or_b32 exec_lo, exec_lo, s2
	s_waitcnt lgkmcnt(0)
	s_waitcnt_vscnt null, 0x0
	s_barrier
	buffer_gl0_inv
	ds_read_b128 v[100:103], v156
	ds_read_b128 v[92:95], v156 offset:1008
	ds_read_b128 v[104:107], v156 offset:8400
	;; [unrolled: 1-line block ×23, first 2 shown]
                                        ; implicit-def: $vgpr16_vgpr17
                                        ; implicit-def: $vgpr44_vgpr45
                                        ; implicit-def: $vgpr12_vgpr13
	s_and_saveexec_b32 s0, vcc_lo
	s_cbranch_execz .LBB0_5
; %bb.4:
	ds_read_b128 v[16:19], v156 offset:8064
	ds_read_b128 v[44:47], v156 offset:16464
	;; [unrolled: 1-line block ×3, first 2 shown]
.LBB0_5:
	s_or_b32 exec_lo, exec_lo, s0
	s_waitcnt lgkmcnt(19)
	v_add_f64 v[108:109], v[104:105], v[88:89]
	v_add_f64 v[112:113], v[106:107], v[90:91]
	s_waitcnt lgkmcnt(18)
	v_add_f64 v[114:115], v[96:97], v[76:77]
	v_add_f64 v[116:117], v[100:101], v[104:105]
	v_add_f64 v[118:119], v[106:107], -v[90:91]
	v_add_f64 v[106:107], v[102:103], v[106:107]
	v_add_co_u32 v160, s0, v163, 63
	v_add_f64 v[120:121], v[98:99], v[78:79]
	v_add_co_ci_u32_e64 v110, null, 0, 0, s0
	v_add_co_u32 v164, s0, 0x7e, v163
	v_add_co_ci_u32_e64 v110, null, 0, 0, s0
	v_add_co_u32 v196, s0, 0xfc, v163
	;; [unrolled: 2-line block ×3, first 2 shown]
	v_add_co_ci_u32_e64 v110, null, 0, 0, s0
	v_fma_f64 v[100:101], v[108:109], -0.5, v[100:101]
	v_fma_f64 v[102:103], v[112:113], -0.5, v[102:103]
	s_waitcnt lgkmcnt(13)
	v_add_f64 v[112:113], v[84:85], v[56:57]
	v_add_co_u32 v110, s0, 0x17a, v163
	v_add_co_ci_u32_e64 v108, null, 0, 0, s0
	v_add_co_u32 v109, s0, 0x1b9, v163
	v_add_co_ci_u32_e64 v108, null, 0, 0, s0
	s_mov_b32 s0, 0xe8584caa
	s_load_dwordx2 s[2:3], s[4:5], 0x8
	s_mov_b32 s1, 0x3febb67a
	s_mov_b32 s5, 0xbfebb67a
	;; [unrolled: 1-line block ×3, first 2 shown]
	v_add_f64 v[104:105], v[104:105], -v[88:89]
	v_add_f64 v[122:123], v[92:93], v[96:97]
	v_add_f64 v[126:127], v[86:87], v[58:59]
	v_fma_f64 v[114:115], v[114:115], -0.5, v[92:93]
	v_add_f64 v[124:125], v[98:99], -v[78:79]
	v_add_f64 v[88:89], v[116:117], v[88:89]
	v_fma_f64 v[92:93], v[118:119], s[0:1], v[100:101]
	v_add_f64 v[116:117], v[94:95], v[98:99]
	s_waitcnt lgkmcnt(0)
	v_add_f64 v[128:129], v[72:73], v[52:53]
	v_add_f64 v[130:131], v[96:97], -v[76:77]
	v_add_f64 v[132:133], v[74:75], v[54:55]
	v_fma_f64 v[96:97], v[118:119], s[4:5], v[100:101]
	v_add_f64 v[90:91], v[106:107], v[90:91]
	v_add_f64 v[100:101], v[80:81], v[84:85]
	;; [unrolled: 1-line block ×3, first 2 shown]
	v_fma_f64 v[112:113], v[112:113], -0.5, v[80:81]
	v_add_f64 v[118:119], v[86:87], -v[58:59]
	v_fma_f64 v[120:121], v[120:121], -0.5, v[94:95]
	v_add_f64 v[136:137], v[64:65], -v[48:49]
	v_add_f64 v[140:141], v[16:17], v[44:45]
	v_add_f64 v[138:139], v[24:25], -v[0:1]
	v_add_f64 v[142:143], v[46:47], -v[14:15]
	v_fma_f64 v[94:95], v[104:105], s[4:5], v[102:103]
	v_fma_f64 v[98:99], v[104:105], s[0:1], v[102:103]
	v_add_f64 v[102:103], v[66:67], v[50:51]
	v_add_f64 v[76:77], v[122:123], v[76:77]
	v_fma_f64 v[122:123], v[126:127], -0.5, v[82:83]
	v_add_f64 v[126:127], v[84:85], -v[56:57]
	v_fma_f64 v[80:81], v[124:125], s[0:1], v[114:115]
	v_fma_f64 v[84:85], v[124:125], s[4:5], v[114:115]
	v_add_f64 v[78:79], v[116:117], v[78:79]
	v_fma_f64 v[116:117], v[128:129], -0.5, v[68:69]
	v_add_f64 v[124:125], v[74:75], -v[54:55]
	v_add_f64 v[74:75], v[70:71], v[74:75]
	v_fma_f64 v[128:129], v[132:133], -0.5, v[70:71]
	v_add_f64 v[132:133], v[72:73], -v[52:53]
	v_add_f64 v[56:57], v[100:101], v[56:57]
	v_add_f64 v[100:101], v[60:61], v[64:65]
	v_fma_f64 v[106:107], v[106:107], -0.5, v[60:61]
	v_fma_f64 v[60:61], v[118:119], s[0:1], v[112:113]
	v_fma_f64 v[64:65], v[118:119], s[4:5], v[112:113]
	v_add_f64 v[112:113], v[36:37], v[4:5]
	v_add_f64 v[104:105], v[82:83], v[86:87]
	;; [unrolled: 1-line block ×3, first 2 shown]
	v_fma_f64 v[82:83], v[130:131], s[4:5], v[120:121]
	v_fma_f64 v[86:87], v[130:131], s[0:1], v[120:121]
	v_add_f64 v[120:121], v[66:67], -v[50:51]
	v_add_f64 v[118:119], v[32:33], v[36:37]
	v_add_f64 v[130:131], v[62:63], v[66:67]
	v_fma_f64 v[134:135], v[102:103], -0.5, v[62:63]
	v_fma_f64 v[62:63], v[126:127], s[4:5], v[122:123]
	v_fma_f64 v[66:67], v[126:127], s[0:1], v[122:123]
	v_add_f64 v[122:123], v[42:43], v[10:11]
	v_add_f64 v[126:127], v[44:45], v[12:13]
	v_fma_f64 v[68:69], v[124:125], s[0:1], v[116:117]
	v_fma_f64 v[72:73], v[124:125], s[4:5], v[116:117]
	v_add_f64 v[54:55], v[74:75], v[54:55]
	v_fma_f64 v[70:71], v[132:133], s[4:5], v[128:129]
	v_fma_f64 v[74:75], v[132:133], s[0:1], v[128:129]
	v_add_f64 v[124:125], v[24:25], v[0:1]
	v_add_f64 v[128:129], v[38:39], -v[6:7]
	v_add_f64 v[116:117], v[40:41], v[8:9]
	v_add_f64 v[48:49], v[100:101], v[48:49]
	v_fma_f64 v[112:113], v[112:113], -0.5, v[32:33]
	v_add_f64 v[58:59], v[104:105], v[58:59]
	v_add_f64 v[52:53], v[114:115], v[52:53]
	;; [unrolled: 1-line block ×4, first 2 shown]
	v_fma_f64 v[100:101], v[120:121], s[0:1], v[106:107]
	v_fma_f64 v[104:105], v[120:121], s[4:5], v[106:107]
	v_add_f64 v[120:121], v[26:27], v[2:3]
	v_add_f64 v[32:33], v[118:119], v[4:5]
	;; [unrolled: 1-line block ×3, first 2 shown]
	v_add_f64 v[4:5], v[36:37], -v[4:5]
	v_add_f64 v[36:37], v[28:29], v[40:41]
	v_fma_f64 v[122:123], v[122:123], -0.5, v[30:31]
	v_add_f64 v[40:41], v[40:41], -v[8:9]
	v_add_f64 v[132:133], v[20:21], v[24:25]
	v_add_f64 v[50:51], v[130:131], v[50:51]
	v_fma_f64 v[102:103], v[136:137], s[4:5], v[134:135]
	v_fma_f64 v[106:107], v[136:137], s[0:1], v[134:135]
	v_add_f64 v[130:131], v[42:43], -v[10:11]
	v_add_f64 v[42:43], v[30:31], v[42:43]
	v_fma_f64 v[124:125], v[124:125], -0.5, v[20:21]
	v_add_f64 v[136:137], v[22:23], v[26:27]
	v_fma_f64 v[126:127], v[126:127], -0.5, v[16:17]
	v_fma_f64 v[16:17], v[128:129], s[0:1], v[112:113]
	v_fma_f64 v[20:21], v[128:129], s[4:5], v[112:113]
	v_add_f64 v[128:129], v[18:19], v[46:47]
	v_fma_f64 v[114:115], v[114:115], -0.5, v[34:35]
	v_fma_f64 v[116:117], v[116:117], -0.5, v[28:29]
	v_add_f64 v[134:135], v[26:27], -v[2:3]
	v_fma_f64 v[120:121], v[120:121], -0.5, v[22:23]
	v_add_f64 v[144:145], v[44:45], -v[12:13]
	v_fma_f64 v[118:119], v[118:119], -0.5, v[18:19]
	v_add_f64 v[34:35], v[38:39], v[6:7]
	v_add_co_u32 v197, null, 0xbd, v163
	v_fma_f64 v[30:31], v[40:41], s[4:5], v[122:123]
	v_fma_f64 v[38:39], v[40:41], s[0:1], v[122:123]
	v_add_f64 v[40:41], v[132:133], v[0:1]
	v_add_f64 v[0:1], v[140:141], v[12:13]
	v_mul_lo_u16 v12, v163, 3
	v_mov_b32_e32 v13, 4
	v_add_f64 v[26:27], v[42:43], v[10:11]
	v_add_f64 v[24:25], v[36:37], v[8:9]
	;; [unrolled: 1-line block ×3, first 2 shown]
	v_fma_f64 v[8:9], v[142:143], s[4:5], v[126:127]
	v_lshlrev_b32_sdwa v13, v13, v12 dst_sel:DWORD dst_unused:UNUSED_PAD src0_sel:DWORD src1_sel:WORD_0
	v_mul_u32_u24_e32 v12, 3, v164
	v_add_f64 v[2:3], v[128:129], v[14:15]
	v_mul_u32_u24_e32 v14, 3, v160
	v_fma_f64 v[18:19], v[4:5], s[4:5], v[114:115]
	v_fma_f64 v[22:23], v[4:5], s[0:1], v[114:115]
	;; [unrolled: 1-line block ×4, first 2 shown]
	v_lshlrev_b32_e32 v14, 4, v14
	v_fma_f64 v[114:115], v[138:139], s[0:1], v[120:121]
	v_fma_f64 v[4:5], v[142:143], s[0:1], v[126:127]
	v_fma_f64 v[6:7], v[144:145], s[4:5], v[118:119]
	v_fma_f64 v[10:11], v[144:145], s[0:1], v[118:119]
	v_fma_f64 v[28:29], v[130:131], s[0:1], v[116:117]
	v_fma_f64 v[44:45], v[134:135], s[0:1], v[124:125]
	v_fma_f64 v[46:47], v[138:139], s[4:5], v[120:121]
	s_barrier
	buffer_gl0_inv
	ds_write_b128 v13, v[88:91]
	ds_write_b128 v13, v[92:95] offset:16
	buffer_store_dword v13, off, s[36:39], 0 offset:436 ; 4-byte Folded Spill
	ds_write_b128 v13, v[96:99] offset:32
	ds_write_b128 v14, v[76:79]
	v_mul_u32_u24_e32 v13, 3, v197
	v_lshlrev_b32_e32 v15, 4, v12
	v_mul_u32_u24_e32 v12, 3, v196
	ds_write_b128 v14, v[80:83] offset:16
	buffer_store_dword v14, off, s[36:39], 0 offset:432 ; 4-byte Folded Spill
	ds_write_b128 v14, v[84:87] offset:32
	v_lshlrev_b32_e32 v13, 4, v13
	v_lshlrev_b32_e32 v14, 4, v12
	v_mul_u32_u24_e32 v12, 3, v111
	v_add_co_u32 v108, null, 0x1f8, v163
	ds_write_b128 v15, v[56:59]
	ds_write_b128 v15, v[60:63] offset:16
	buffer_store_dword v15, off, s[36:39], 0 offset:444 ; 4-byte Folded Spill
	ds_write_b128 v15, v[64:67] offset:32
	ds_write_b128 v13, v[52:55]
	ds_write_b128 v13, v[68:71] offset:16
	buffer_store_dword v13, off, s[36:39], 0 offset:448 ; 4-byte Folded Spill
	ds_write_b128 v13, v[72:75] offset:32
	ds_write_b128 v14, v[48:51]
	v_mul_u32_u24_e32 v13, 3, v110
	v_lshlrev_b32_e32 v15, 4, v12
	v_mul_u32_u24_e32 v12, 3, v109
	ds_write_b128 v14, v[100:103] offset:16
	buffer_store_dword v14, off, s[36:39], 0 offset:440 ; 4-byte Folded Spill
	ds_write_b128 v14, v[104:107] offset:32
	v_lshlrev_b32_e32 v13, 4, v13
	v_lshlrev_b32_e32 v12, 4, v12
	v_mul_u32_u24_e32 v14, 3, v108
	ds_write_b128 v15, v[32:35]
	ds_write_b128 v15, v[16:19] offset:16
	buffer_store_dword v15, off, s[36:39], 0 offset:456 ; 4-byte Folded Spill
	ds_write_b128 v15, v[20:23] offset:32
	ds_write_b128 v13, v[24:27]
	ds_write_b128 v13, v[28:31] offset:16
	buffer_store_dword v14, off, s[36:39], 0 offset:1424 ; 4-byte Folded Spill
	buffer_store_dword v13, off, s[36:39], 0 offset:460 ; 4-byte Folded Spill
	ds_write_b128 v13, v[36:39] offset:32
	ds_write_b128 v12, v[40:43]
	ds_write_b128 v12, v[44:47] offset:16
	buffer_store_dword v12, off, s[36:39], 0 offset:452 ; 4-byte Folded Spill
	ds_write_b128 v12, v[112:115] offset:32
	s_and_saveexec_b32 s0, vcc_lo
	s_cbranch_execz .LBB0_7
; %bb.6:
	v_mul_u32_u24_e32 v12, 3, v108
	v_lshlrev_b32_e32 v12, 4, v12
	ds_write_b128 v12, v[0:3]
	ds_write_b128 v12, v[4:7] offset:16
	ds_write_b128 v12, v[8:11] offset:32
.LBB0_7:
	s_or_b32 exec_lo, exec_lo, s0
	s_waitcnt lgkmcnt(0)
	s_waitcnt_vscnt null, 0x0
	s_barrier
	buffer_gl0_inv
	ds_read_b128 v[40:43], v156
	ds_read_b128 v[36:39], v156 offset:1008
	ds_read_b128 v[104:107], v156 offset:8400
	;; [unrolled: 1-line block ×23, first 2 shown]
	s_and_saveexec_b32 s0, vcc_lo
	s_cbranch_execz .LBB0_9
; %bb.8:
	ds_read_b128 v[0:3], v156 offset:8064
	ds_read_b128 v[4:7], v156 offset:16464
	;; [unrolled: 1-line block ×3, first 2 shown]
.LBB0_9:
	s_or_b32 exec_lo, exec_lo, s0
	v_and_b32_e32 v126, 0xff, v163
	v_and_b32_e32 v162, 0xff, v160
	v_and_b32_e32 v161, 0xff, v164
	v_and_b32_e32 v159, 0xff, v197
	v_mov_b32_e32 v144, 4
	v_mul_lo_u16 v112, 0xab, v126
	s_mov_b32 s0, 0xe8584caa
	s_mov_b32 s1, 0x3febb67a
	;; [unrolled: 1-line block ×3, first 2 shown]
	v_lshrrev_b16 v127, 9, v112
	v_mul_lo_u16 v112, v127, 3
	v_sub_nc_u16 v112, v163, v112
	v_and_b32_e32 v128, 0xff, v112
	v_lshlrev_b32_e32 v114, 5, v128
	global_load_dwordx4 v[118:121], v114, s[2:3]
	s_waitcnt vmcnt(0) lgkmcnt(21)
	v_mul_f64 v[112:113], v[106:107], v[120:121]
	v_fma_f64 v[116:117], v[104:105], v[118:119], -v[112:113]
	v_mul_f64 v[104:105], v[104:105], v[120:121]
	buffer_store_dword v118, off, s[36:39], 0 offset:480 ; 4-byte Folded Spill
	buffer_store_dword v119, off, s[36:39], 0 offset:484 ; 4-byte Folded Spill
	buffer_store_dword v120, off, s[36:39], 0 offset:488 ; 4-byte Folded Spill
	buffer_store_dword v121, off, s[36:39], 0 offset:492 ; 4-byte Folded Spill
	global_load_dwordx4 v[112:115], v114, s[2:3] offset:16
	v_fma_f64 v[104:105], v[106:107], v[118:119], v[104:105]
	s_waitcnt vmcnt(0) lgkmcnt(19)
	v_mul_f64 v[106:107], v[102:103], v[114:115]
	v_fma_f64 v[106:107], v[100:101], v[112:113], -v[106:107]
	v_mul_f64 v[100:101], v[100:101], v[114:115]
	buffer_store_dword v112, off, s[36:39], 0 offset:464 ; 4-byte Folded Spill
	buffer_store_dword v113, off, s[36:39], 0 offset:468 ; 4-byte Folded Spill
	;; [unrolled: 1-line block ×4, first 2 shown]
	v_fma_f64 v[100:101], v[102:103], v[112:113], v[100:101]
	v_mul_lo_u16 v102, 0xab, v162
	v_lshrrev_b16 v129, 9, v102
	v_mul_lo_u16 v102, v129, 3
	v_sub_nc_u16 v102, v160, v102
	v_and_b32_e32 v130, 0xff, v102
	v_lshlrev_b32_e32 v112, 5, v130
	global_load_dwordx4 v[120:123], v112, s[2:3]
	s_waitcnt vmcnt(0)
	v_mul_f64 v[102:103], v[98:99], v[122:123]
	v_fma_f64 v[118:119], v[96:97], v[120:121], -v[102:103]
	v_mul_f64 v[96:97], v[96:97], v[122:123]
	buffer_store_dword v120, off, s[36:39], 0 offset:520 ; 4-byte Folded Spill
	buffer_store_dword v121, off, s[36:39], 0 offset:524 ; 4-byte Folded Spill
	;; [unrolled: 1-line block ×4, first 2 shown]
	global_load_dwordx4 v[112:115], v112, s[2:3] offset:16
	v_fma_f64 v[96:97], v[98:99], v[120:121], v[96:97]
	s_waitcnt vmcnt(0) lgkmcnt(18)
	v_mul_f64 v[98:99], v[94:95], v[114:115]
	v_fma_f64 v[98:99], v[92:93], v[112:113], -v[98:99]
	v_mul_f64 v[92:93], v[92:93], v[114:115]
	buffer_store_dword v112, off, s[36:39], 0 offset:504 ; 4-byte Folded Spill
	buffer_store_dword v113, off, s[36:39], 0 offset:508 ; 4-byte Folded Spill
	buffer_store_dword v114, off, s[36:39], 0 offset:512 ; 4-byte Folded Spill
	buffer_store_dword v115, off, s[36:39], 0 offset:516 ; 4-byte Folded Spill
	v_fma_f64 v[92:93], v[94:95], v[112:113], v[92:93]
	v_mul_lo_u16 v94, 0xab, v161
	v_lshrrev_b16 v131, 9, v94
	v_mul_lo_u16 v94, v131, 3
	v_sub_nc_u16 v94, v164, v94
	v_and_b32_e32 v132, 0xff, v94
	v_lshlrev_b32_e32 v102, 5, v132
	global_load_dwordx4 v[112:115], v102, s[2:3]
	s_waitcnt vmcnt(0) lgkmcnt(15)
	v_mul_f64 v[94:95], v[90:91], v[114:115]
	v_fma_f64 v[94:95], v[88:89], v[112:113], -v[94:95]
	v_mul_f64 v[88:89], v[88:89], v[114:115]
	buffer_store_dword v112, off, s[36:39], 0 offset:572 ; 4-byte Folded Spill
	buffer_store_dword v113, off, s[36:39], 0 offset:576 ; 4-byte Folded Spill
	;; [unrolled: 1-line block ×4, first 2 shown]
	v_fma_f64 v[120:121], v[90:91], v[112:113], v[88:89]
	global_load_dwordx4 v[112:115], v102, s[2:3] offset:16
	s_waitcnt vmcnt(0) lgkmcnt(13)
	v_mul_f64 v[88:89], v[86:87], v[114:115]
	v_fma_f64 v[122:123], v[84:85], v[112:113], -v[88:89]
	v_mul_f64 v[84:85], v[84:85], v[114:115]
	buffer_store_dword v112, off, s[36:39], 0 offset:552 ; 4-byte Folded Spill
	buffer_store_dword v113, off, s[36:39], 0 offset:556 ; 4-byte Folded Spill
	buffer_store_dword v114, off, s[36:39], 0 offset:560 ; 4-byte Folded Spill
	buffer_store_dword v115, off, s[36:39], 0 offset:564 ; 4-byte Folded Spill
	v_fma_f64 v[124:125], v[86:87], v[112:113], v[84:85]
	v_mul_lo_u16 v84, 0xab, v159
	v_lshrrev_b16 v133, 9, v84
	v_mul_lo_u16 v84, v133, 3
	v_sub_nc_u16 v84, v197, v84
	v_and_b32_e32 v134, 0xff, v84
	v_lshlrev_b32_e32 v86, 5, v134
	global_load_dwordx4 v[87:90], v86, s[2:3]
	s_waitcnt vmcnt(0)
	v_mul_f64 v[84:85], v[82:83], v[89:90]
	v_fma_f64 v[146:147], v[80:81], v[87:88], -v[84:85]
	v_mul_f64 v[80:81], v[80:81], v[89:90]
	buffer_store_dword v87, off, s[36:39], 0 offset:616 ; 4-byte Folded Spill
	buffer_store_dword v88, off, s[36:39], 0 offset:620 ; 4-byte Folded Spill
	;; [unrolled: 1-line block ×4, first 2 shown]
	v_fma_f64 v[148:149], v[82:83], v[87:88], v[80:81]
	global_load_dwordx4 v[82:85], v86, s[2:3] offset:16
	s_waitcnt vmcnt(0) lgkmcnt(12)
	v_mul_f64 v[80:81], v[78:79], v[84:85]
	v_fma_f64 v[150:151], v[76:77], v[82:83], -v[80:81]
	v_mul_f64 v[76:77], v[76:77], v[84:85]
	buffer_store_dword v82, off, s[36:39], 0 offset:600 ; 4-byte Folded Spill
	buffer_store_dword v83, off, s[36:39], 0 offset:604 ; 4-byte Folded Spill
	;; [unrolled: 1-line block ×4, first 2 shown]
	v_fma_f64 v[152:153], v[78:79], v[82:83], v[76:77]
	v_mov_b32_e32 v78, 0xaaab
	v_mul_u32_u24_sdwa v76, v196, v78 dst_sel:DWORD dst_unused:UNUSED_PAD src0_sel:WORD_0 src1_sel:DWORD
	v_lshrrev_b32_e32 v135, 17, v76
	v_mul_lo_u16 v76, v135, 3
	v_sub_nc_u16 v136, v196, v76
	v_lshlrev_b16 v76, 1, v136
	v_lshlrev_b32_sdwa v79, v144, v76 dst_sel:DWORD dst_unused:UNUSED_PAD src0_sel:DWORD src1_sel:WORD_0
	global_load_dwordx4 v[80:83], v79, s[2:3]
	s_waitcnt vmcnt(0) lgkmcnt(9)
	v_mul_f64 v[76:77], v[74:75], v[82:83]
	v_fma_f64 v[154:155], v[72:73], v[80:81], -v[76:77]
	v_mul_f64 v[72:73], v[72:73], v[82:83]
	buffer_store_dword v80, off, s[36:39], 0 offset:648 ; 4-byte Folded Spill
	buffer_store_dword v81, off, s[36:39], 0 offset:652 ; 4-byte Folded Spill
	;; [unrolled: 1-line block ×4, first 2 shown]
	v_fma_f64 v[165:166], v[74:75], v[80:81], v[72:73]
	global_load_dwordx4 v[74:77], v79, s[2:3] offset:16
	s_waitcnt vmcnt(0) lgkmcnt(7)
	v_mul_f64 v[72:73], v[70:71], v[76:77]
	v_fma_f64 v[167:168], v[68:69], v[74:75], -v[72:73]
	v_mul_f64 v[68:69], v[68:69], v[76:77]
	buffer_store_dword v74, off, s[36:39], 0 offset:632 ; 4-byte Folded Spill
	buffer_store_dword v75, off, s[36:39], 0 offset:636 ; 4-byte Folded Spill
	;; [unrolled: 1-line block ×4, first 2 shown]
	v_fma_f64 v[169:170], v[70:71], v[74:75], v[68:69]
	v_mul_u32_u24_sdwa v68, v111, v78 dst_sel:DWORD dst_unused:UNUSED_PAD src0_sel:WORD_0 src1_sel:DWORD
	v_lshrrev_b32_e32 v137, 17, v68
	v_mul_lo_u16 v68, v137, 3
	v_sub_nc_u16 v138, v111, v68
	v_lshlrev_b16 v68, 1, v138
	v_lshlrev_b32_sdwa v70, v144, v68 dst_sel:DWORD dst_unused:UNUSED_PAD src0_sel:DWORD src1_sel:WORD_0
	global_load_dwordx4 v[71:74], v70, s[2:3]
	s_waitcnt vmcnt(0)
	v_mul_f64 v[68:69], v[66:67], v[73:74]
	v_fma_f64 v[171:172], v[64:65], v[71:72], -v[68:69]
	v_mul_f64 v[64:65], v[64:65], v[73:74]
	buffer_store_dword v71, off, s[36:39], 0 offset:680 ; 4-byte Folded Spill
	buffer_store_dword v72, off, s[36:39], 0 offset:684 ; 4-byte Folded Spill
	;; [unrolled: 1-line block ×4, first 2 shown]
	v_fma_f64 v[173:174], v[66:67], v[71:72], v[64:65]
	global_load_dwordx4 v[66:69], v70, s[2:3] offset:16
	s_waitcnt vmcnt(0) lgkmcnt(6)
	v_mul_f64 v[64:65], v[62:63], v[68:69]
	v_fma_f64 v[175:176], v[60:61], v[66:67], -v[64:65]
	v_mul_f64 v[60:61], v[60:61], v[68:69]
	buffer_store_dword v66, off, s[36:39], 0 offset:664 ; 4-byte Folded Spill
	buffer_store_dword v67, off, s[36:39], 0 offset:668 ; 4-byte Folded Spill
	;; [unrolled: 1-line block ×4, first 2 shown]
	v_fma_f64 v[177:178], v[62:63], v[66:67], v[60:61]
	v_mul_u32_u24_sdwa v60, v110, v78 dst_sel:DWORD dst_unused:UNUSED_PAD src0_sel:WORD_0 src1_sel:DWORD
	v_lshrrev_b32_e32 v139, 17, v60
	v_mul_lo_u16 v60, v139, 3
	v_sub_nc_u16 v140, v110, v60
	v_lshlrev_b16 v60, 1, v140
	v_lshlrev_b32_sdwa v62, v144, v60 dst_sel:DWORD dst_unused:UNUSED_PAD src0_sel:DWORD src1_sel:WORD_0
	global_load_dwordx4 v[63:66], v62, s[2:3]
	s_waitcnt vmcnt(0) lgkmcnt(3)
	v_mul_f64 v[60:61], v[58:59], v[65:66]
	v_fma_f64 v[179:180], v[56:57], v[63:64], -v[60:61]
	v_mul_f64 v[56:57], v[56:57], v[65:66]
	buffer_store_dword v63, off, s[36:39], 0 offset:712 ; 4-byte Folded Spill
	buffer_store_dword v64, off, s[36:39], 0 offset:716 ; 4-byte Folded Spill
	;; [unrolled: 1-line block ×4, first 2 shown]
	v_fma_f64 v[181:182], v[58:59], v[63:64], v[56:57]
	global_load_dwordx4 v[58:61], v62, s[2:3] offset:16
	s_waitcnt vmcnt(0) lgkmcnt(1)
	v_mul_f64 v[56:57], v[54:55], v[60:61]
	v_fma_f64 v[183:184], v[52:53], v[58:59], -v[56:57]
	v_mul_f64 v[52:53], v[52:53], v[60:61]
	buffer_store_dword v58, off, s[36:39], 0 offset:696 ; 4-byte Folded Spill
	buffer_store_dword v59, off, s[36:39], 0 offset:700 ; 4-byte Folded Spill
	;; [unrolled: 1-line block ×4, first 2 shown]
	v_fma_f64 v[185:186], v[54:55], v[58:59], v[52:53]
	v_mul_u32_u24_sdwa v52, v109, v78 dst_sel:DWORD dst_unused:UNUSED_PAD src0_sel:WORD_0 src1_sel:DWORD
	v_lshrrev_b32_e32 v141, 17, v52
	v_mul_lo_u16 v52, v141, 3
	v_sub_nc_u16 v142, v109, v52
	v_lshlrev_b16 v52, 1, v142
	v_lshlrev_b32_sdwa v54, v144, v52 dst_sel:DWORD dst_unused:UNUSED_PAD src0_sel:DWORD src1_sel:WORD_0
	global_load_dwordx4 v[55:58], v54, s[2:3]
	s_waitcnt vmcnt(0)
	v_mul_f64 v[52:53], v[50:51], v[57:58]
	v_fma_f64 v[187:188], v[48:49], v[55:56], -v[52:53]
	v_mul_f64 v[48:49], v[48:49], v[57:58]
	buffer_store_dword v55, off, s[36:39], 0 offset:752 ; 4-byte Folded Spill
	buffer_store_dword v56, off, s[36:39], 0 offset:756 ; 4-byte Folded Spill
	;; [unrolled: 1-line block ×4, first 2 shown]
	v_fma_f64 v[189:190], v[50:51], v[55:56], v[48:49]
	global_load_dwordx4 v[50:53], v54, s[2:3] offset:16
	s_waitcnt vmcnt(0) lgkmcnt(0)
	v_mul_f64 v[48:49], v[46:47], v[52:53]
	v_fma_f64 v[191:192], v[44:45], v[50:51], -v[48:49]
	v_mul_f64 v[44:45], v[44:45], v[52:53]
	buffer_store_dword v50, off, s[36:39], 0 offset:772 ; 4-byte Folded Spill
	buffer_store_dword v51, off, s[36:39], 0 offset:776 ; 4-byte Folded Spill
	;; [unrolled: 1-line block ×4, first 2 shown]
	v_fma_f64 v[193:194], v[46:47], v[50:51], v[44:45]
	v_mul_u32_u24_sdwa v44, v108, v78 dst_sel:DWORD dst_unused:UNUSED_PAD src0_sel:WORD_0 src1_sel:DWORD
	v_lshrrev_b32_e32 v143, 17, v44
	v_mul_lo_u16 v44, v143, 3
	v_sub_nc_u16 v145, v108, v44
	v_lshlrev_b16 v44, 1, v145
	v_lshlrev_b32_sdwa v46, v144, v44 dst_sel:DWORD dst_unused:UNUSED_PAD src0_sel:DWORD src1_sel:WORD_0
	global_load_dwordx4 v[47:50], v46, s[2:3]
	s_waitcnt vmcnt(0)
	v_mul_f64 v[44:45], v[6:7], v[49:50]
	v_fma_f64 v[108:109], v[4:5], v[47:48], -v[44:45]
	v_mul_f64 v[4:5], v[4:5], v[49:50]
	buffer_store_dword v47, off, s[36:39], 0 offset:872 ; 4-byte Folded Spill
	buffer_store_dword v48, off, s[36:39], 0 offset:876 ; 4-byte Folded Spill
	;; [unrolled: 1-line block ×4, first 2 shown]
	v_fma_f64 v[110:111], v[6:7], v[47:48], v[4:5]
	global_load_dwordx4 v[44:47], v46, s[2:3] offset:16
	v_add_f64 v[6:7], v[104:105], v[100:101]
	v_fma_f64 v[6:7], v[6:7], -0.5, v[42:43]
	s_waitcnt vmcnt(0)
	v_mul_f64 v[4:5], v[10:11], v[46:47]
	v_fma_f64 v[112:113], v[8:9], v[44:45], -v[4:5]
	v_mul_f64 v[4:5], v[8:9], v[46:47]
	buffer_store_dword v44, off, s[36:39], 0 offset:888 ; 4-byte Folded Spill
	buffer_store_dword v45, off, s[36:39], 0 offset:892 ; 4-byte Folded Spill
	;; [unrolled: 1-line block ×4, first 2 shown]
	v_add_f64 v[8:9], v[42:43], v[104:105]
	s_waitcnt_vscnt null, 0x0
	s_barrier
	buffer_gl0_inv
	v_add_f64 v[90:91], v[8:9], v[100:101]
	v_add_f64 v[8:9], v[116:117], -v[106:107]
	v_fma_f64 v[102:103], v[8:9], s[0:1], v[6:7]
	v_fma_f64 v[114:115], v[10:11], v[44:45], v[4:5]
	v_add_f64 v[4:5], v[116:117], v[106:107]
	v_add_f64 v[10:11], v[40:41], v[116:117]
	v_add_f64 v[116:117], v[108:109], -v[112:113]
	v_fma_f64 v[4:5], v[4:5], -0.5, v[40:41]
	v_add_f64 v[40:41], v[104:105], -v[100:101]
	v_add_f64 v[88:89], v[10:11], v[106:107]
	v_fma_f64 v[106:107], v[8:9], s[4:5], v[6:7]
	v_add_f64 v[6:7], v[96:97], v[92:93]
	v_add_f64 v[8:9], v[38:39], v[96:97]
	;; [unrolled: 1-line block ×3, first 2 shown]
	v_fma_f64 v[104:105], v[40:41], s[0:1], v[4:5]
	v_fma_f64 v[100:101], v[40:41], s[4:5], v[4:5]
	v_add_f64 v[4:5], v[118:119], v[98:99]
	v_fma_f64 v[6:7], v[6:7], -0.5, v[38:39]
	v_add_f64 v[78:79], v[8:9], v[92:93]
	v_add_f64 v[8:9], v[118:119], -v[98:99]
	v_add_f64 v[76:77], v[10:11], v[98:99]
	v_add_f64 v[10:11], v[32:33], v[94:95]
	v_add_f64 v[98:99], v[110:111], -v[114:115]
	v_fma_f64 v[4:5], v[4:5], -0.5, v[36:37]
	v_add_f64 v[36:37], v[96:97], -v[92:93]
	v_add_f64 v[92:93], v[187:188], -v[191:192]
	v_fma_f64 v[86:87], v[8:9], s[4:5], v[6:7]
	v_fma_f64 v[82:83], v[8:9], s[0:1], v[6:7]
	v_add_f64 v[6:7], v[120:121], v[124:125]
	v_add_f64 v[8:9], v[34:35], v[120:121]
	;; [unrolled: 1-line block ×4, first 2 shown]
	v_fma_f64 v[84:85], v[36:37], s[0:1], v[4:5]
	v_fma_f64 v[80:81], v[36:37], s[4:5], v[4:5]
	v_add_f64 v[4:5], v[94:95], v[122:123]
	v_fma_f64 v[6:7], v[6:7], -0.5, v[34:35]
	v_add_f64 v[66:67], v[8:9], v[124:125]
	v_add_f64 v[8:9], v[94:95], -v[122:123]
	v_add_f64 v[52:53], v[10:11], v[150:151]
	v_add_f64 v[10:11], v[24:25], v[154:155]
	;; [unrolled: 1-line block ×3, first 2 shown]
	v_fma_f64 v[4:5], v[4:5], -0.5, v[32:33]
	v_add_f64 v[32:33], v[120:121], -v[124:125]
	v_fma_f64 v[74:75], v[8:9], s[4:5], v[6:7]
	v_fma_f64 v[70:71], v[8:9], s[0:1], v[6:7]
	v_add_f64 v[6:7], v[148:149], v[152:153]
	v_add_f64 v[8:9], v[30:31], v[148:149]
	;; [unrolled: 1-line block ×4, first 2 shown]
	v_fma_f64 v[94:95], v[94:95], -0.5, v[2:3]
	v_fma_f64 v[72:73], v[32:33], s[0:1], v[4:5]
	v_fma_f64 v[68:69], v[32:33], s[4:5], v[4:5]
	v_add_f64 v[4:5], v[146:147], v[150:151]
	v_fma_f64 v[6:7], v[6:7], -0.5, v[30:31]
	v_add_f64 v[54:55], v[8:9], v[152:153]
	v_add_f64 v[8:9], v[146:147], -v[150:151]
	v_fma_f64 v[4:5], v[4:5], -0.5, v[28:29]
	v_add_f64 v[28:29], v[148:149], -v[152:153]
	v_fma_f64 v[62:63], v[8:9], s[4:5], v[6:7]
	v_fma_f64 v[58:59], v[8:9], s[0:1], v[6:7]
	v_add_f64 v[6:7], v[165:166], v[169:170]
	v_add_f64 v[8:9], v[26:27], v[165:166]
	v_fma_f64 v[60:61], v[28:29], s[0:1], v[4:5]
	v_fma_f64 v[56:57], v[28:29], s[4:5], v[4:5]
	v_add_f64 v[4:5], v[154:155], v[167:168]
	v_add_f64 v[28:29], v[10:11], v[175:176]
	v_add_f64 v[10:11], v[16:17], v[179:180]
	v_fma_f64 v[6:7], v[6:7], -0.5, v[26:27]
	v_add_f64 v[42:43], v[8:9], v[169:170]
	v_add_f64 v[8:9], v[154:155], -v[167:168]
	v_fma_f64 v[4:5], v[4:5], -0.5, v[24:25]
	v_add_f64 v[24:25], v[165:166], -v[169:170]
	v_fma_f64 v[50:51], v[8:9], s[4:5], v[6:7]
	v_fma_f64 v[46:47], v[8:9], s[0:1], v[6:7]
	v_add_f64 v[6:7], v[173:174], v[177:178]
	v_add_f64 v[8:9], v[22:23], v[173:174]
	v_fma_f64 v[48:49], v[24:25], s[0:1], v[4:5]
	v_fma_f64 v[44:45], v[24:25], s[4:5], v[4:5]
	v_add_f64 v[4:5], v[171:172], v[175:176]
	v_fma_f64 v[6:7], v[6:7], -0.5, v[22:23]
	v_add_f64 v[30:31], v[8:9], v[177:178]
	v_add_f64 v[8:9], v[171:172], -v[175:176]
	v_fma_f64 v[4:5], v[4:5], -0.5, v[20:21]
	v_add_f64 v[20:21], v[173:174], -v[177:178]
	v_fma_f64 v[38:39], v[8:9], s[4:5], v[6:7]
	v_fma_f64 v[34:35], v[8:9], s[0:1], v[6:7]
	v_add_f64 v[6:7], v[181:182], v[185:186]
	v_add_f64 v[8:9], v[18:19], v[181:182]
	v_fma_f64 v[36:37], v[20:21], s[0:1], v[4:5]
	v_fma_f64 v[32:33], v[20:21], s[4:5], v[4:5]
	v_add_f64 v[4:5], v[179:180], v[183:184]
	v_add_f64 v[20:21], v[181:182], -v[185:186]
	v_fma_f64 v[6:7], v[6:7], -0.5, v[18:19]
	v_add_f64 v[18:19], v[8:9], v[185:186]
	v_add_f64 v[8:9], v[179:180], -v[183:184]
	v_fma_f64 v[4:5], v[4:5], -0.5, v[16:17]
	v_add_f64 v[16:17], v[10:11], v[183:184]
	v_fma_f64 v[26:27], v[8:9], s[4:5], v[6:7]
	v_fma_f64 v[22:23], v[8:9], s[0:1], v[6:7]
	v_add_f64 v[6:7], v[189:190], v[193:194]
	v_add_f64 v[8:9], v[14:15], v[189:190]
	v_fma_f64 v[24:25], v[20:21], s[0:1], v[4:5]
	v_fma_f64 v[20:21], v[20:21], s[4:5], v[4:5]
	v_add_f64 v[4:5], v[187:188], v[191:192]
	v_fma_f64 v[6:7], v[6:7], -0.5, v[14:15]
	v_add_f64 v[14:15], v[189:190], -v[193:194]
	v_add_f64 v[10:11], v[8:9], v[193:194]
	v_fma_f64 v[4:5], v[4:5], -0.5, v[12:13]
	v_add_f64 v[12:13], v[12:13], v[187:188]
	v_add_f64 v[8:9], v[12:13], v[191:192]
	v_fma_f64 v[12:13], v[14:15], s[0:1], v[4:5]
	v_fma_f64 v[4:5], v[14:15], s[4:5], v[4:5]
	;; [unrolled: 1-line block ×4, first 2 shown]
	v_add_f64 v[92:93], v[108:109], v[112:113]
	v_fma_f64 v[92:93], v[92:93], -0.5, v[0:1]
	v_fma_f64 v[96:97], v[98:99], s[0:1], v[92:93]
	v_fma_f64 v[92:93], v[98:99], s[4:5], v[92:93]
	v_fma_f64 v[98:99], v[116:117], s[4:5], v[94:95]
	v_fma_f64 v[94:95], v[116:117], s[0:1], v[94:95]
	v_mov_b32_e32 v116, 9
	v_mul_u32_u24_sdwa v117, v127, v116 dst_sel:DWORD dst_unused:UNUSED_PAD src0_sel:WORD_0 src1_sel:DWORD
	v_add_lshl_u32 v117, v117, v128, 4
	ds_write_b128 v117, v[88:91]
	ds_write_b128 v117, v[104:107] offset:48
	v_mul_u32_u24_sdwa v88, v129, v116 dst_sel:DWORD dst_unused:UNUSED_PAD src0_sel:WORD_0 src1_sel:DWORD
	buffer_store_dword v117, off, s[36:39], 0 offset:500 ; 4-byte Folded Spill
	ds_write_b128 v117, v[100:103] offset:96
	v_add_lshl_u32 v88, v88, v130, 4
	ds_write_b128 v88, v[76:79]
	ds_write_b128 v88, v[84:87] offset:48
	v_mul_u32_u24_sdwa v76, v131, v116 dst_sel:DWORD dst_unused:UNUSED_PAD src0_sel:WORD_0 src1_sel:DWORD
	buffer_store_dword v88, off, s[36:39], 0 offset:536 ; 4-byte Folded Spill
	ds_write_b128 v88, v[80:83] offset:96
	;; [unrolled: 6-line block ×3, first 2 shown]
	v_add_lshl_u32 v64, v64, v134, 4
	ds_write_b128 v64, v[52:55]
	ds_write_b128 v64, v[60:63] offset:48
	v_mad_u16 v52, v135, 9, v136
	buffer_store_dword v64, off, s[36:39], 0 offset:544 ; 4-byte Folded Spill
	ds_write_b128 v64, v[56:59] offset:96
	v_lshlrev_b32_sdwa v52, v144, v52 dst_sel:DWORD dst_unused:UNUSED_PAD src0_sel:DWORD src1_sel:WORD_0
	ds_write_b128 v52, v[40:43]
	ds_write_b128 v52, v[48:51] offset:48
	v_mad_u16 v40, v137, 9, v138
	buffer_store_dword v52, off, s[36:39], 0 offset:548 ; 4-byte Folded Spill
	ds_write_b128 v52, v[44:47] offset:96
	v_lshlrev_b32_sdwa v40, v144, v40 dst_sel:DWORD dst_unused:UNUSED_PAD src0_sel:DWORD src1_sel:WORD_0
	;; [unrolled: 6-line block ×4, first 2 shown]
	ds_write_b128 v16, v[8:11]
	ds_write_b128 v16, v[12:15] offset:48
	v_mad_u16 v8, v143, 9, v145
	buffer_store_dword v8, off, s[36:39], 0 offset:596 ; 4-byte Folded Spill
	buffer_store_dword v16, off, s[36:39], 0 offset:592 ; 4-byte Folded Spill
	ds_write_b128 v16, v[4:7] offset:96
	s_and_saveexec_b32 s0, vcc_lo
	s_cbranch_execz .LBB0_11
; %bb.10:
	buffer_load_dword v4, off, s[36:39], 0 offset:596 ; 4-byte Folded Reload
	v_add_f64 v[2:3], v[2:3], v[110:111]
	v_add_f64 v[0:1], v[0:1], v[108:109]
	;; [unrolled: 1-line block ×4, first 2 shown]
	s_waitcnt vmcnt(0)
	v_lshlrev_b32_sdwa v4, v144, v4 dst_sel:DWORD dst_unused:UNUSED_PAD src0_sel:DWORD src1_sel:WORD_0
	ds_write_b128 v4, v[96:99] offset:48
	ds_write_b128 v4, v[0:3]
	ds_write_b128 v4, v[92:95] offset:96
.LBB0_11:
	s_or_b32 exec_lo, exec_lo, s0
	v_mul_lo_u16 v0, v126, 57
	v_mul_lo_u16 v1, v162, 57
	s_waitcnt lgkmcnt(0)
	s_waitcnt_vscnt null, 0x0
	s_barrier
	buffer_gl0_inv
	v_lshrrev_b16 v149, 9, v0
	v_lshrrev_b16 v145, 9, v1
	s_mov_b32 s12, 0x134454ff
	s_mov_b32 s13, 0x3fee6f0e
	;; [unrolled: 1-line block ×3, first 2 shown]
	v_mul_lo_u16 v0, v149, 9
	s_mov_b32 s14, s12
	s_mov_b32 s5, 0xbfe2cf23
	;; [unrolled: 1-line block ×4, first 2 shown]
	v_sub_nc_u16 v0, v163, v0
	v_mov_b32_e32 v155, 45
	v_and_b32_e32 v150, 0xff, v0
	v_mul_lo_u16 v0, v145, 9
	v_lshlrev_b32_e32 v1, 6, v150
	v_sub_nc_u16 v0, v160, v0
	s_clause 0x2
	global_load_dwordx4 v[56:59], v1, s[2:3] offset:96
	global_load_dwordx4 v[52:55], v1, s[2:3] offset:112
	;; [unrolled: 1-line block ×3, first 2 shown]
	v_and_b32_e32 v146, 0xff, v0
	v_lshlrev_b32_e32 v0, 6, v146
	s_clause 0x1
	global_load_dwordx4 v[116:119], v1, s[2:3] offset:144
	global_load_dwordx4 v[108:111], v0, s[2:3] offset:96
	v_mul_lo_u16 v1, v161, 57
	s_clause 0x2
	global_load_dwordx4 v[112:115], v0, s[2:3] offset:112
	global_load_dwordx4 v[104:107], v0, s[2:3] offset:128
	;; [unrolled: 1-line block ×3, first 2 shown]
	v_lshrrev_b16 v147, 9, v1
	v_mul_lo_u16 v1, v147, 9
	v_sub_nc_u16 v0, v164, v1
	v_and_b32_e32 v148, 0xff, v0
	v_lshlrev_b32_e32 v0, 6, v148
	s_clause 0x3
	global_load_dwordx4 v[86:89], v0, s[2:3] offset:96
	global_load_dwordx4 v[82:85], v0, s[2:3] offset:112
	;; [unrolled: 1-line block ×4, first 2 shown]
	ds_read_b128 v[0:3], v156 offset:5040
	ds_read_b128 v[4:7], v156 offset:10080
	;; [unrolled: 1-line block ×8, first 2 shown]
	s_waitcnt vmcnt(11) lgkmcnt(7)
	v_mul_f64 v[8:9], v[2:3], v[58:59]
	v_mul_f64 v[10:11], v[0:1], v[58:59]
	s_waitcnt vmcnt(10) lgkmcnt(6)
	v_mul_f64 v[14:15], v[6:7], v[54:55]
	v_mul_f64 v[16:17], v[4:5], v[54:55]
	;; [unrolled: 3-line block ×5, first 2 shown]
	s_waitcnt vmcnt(4) lgkmcnt(0)
	v_mul_f64 v[72:73], v[42:43], v[102:103]
	v_fma_f64 v[12:13], v[0:1], v[56:57], -v[8:9]
	v_fma_f64 v[8:9], v[2:3], v[56:57], v[10:11]
	ds_read_b128 v[0:3], v156 offset:7056
	v_fma_f64 v[18:19], v[4:5], v[52:53], -v[14:15]
	v_fma_f64 v[14:15], v[6:7], v[52:53], v[16:17]
	v_fma_f64 v[16:17], v[20:21], v[68:69], -v[32:33]
	buffer_store_dword v68, off, s[36:39], 0 offset:1208 ; 4-byte Folded Spill
	buffer_store_dword v69, off, s[36:39], 0 offset:1212 ; 4-byte Folded Spill
	;; [unrolled: 1-line block ×4, first 2 shown]
	v_mul_f64 v[64:65], v[36:37], v[114:115]
	v_mul_f64 v[66:67], v[34:35], v[114:115]
	;; [unrolled: 1-line block ×3, first 2 shown]
	v_fma_f64 v[34:35], v[34:35], v[112:113], -v[64:65]
	v_fma_f64 v[10:11], v[22:23], v[68:69], v[46:47]
	v_fma_f64 v[22:23], v[24:25], v[116:117], -v[48:49]
	buffer_store_dword v116, off, s[36:39], 0 offset:1160 ; 4-byte Folded Spill
	buffer_store_dword v117, off, s[36:39], 0 offset:1164 ; 4-byte Folded Spill
	;; [unrolled: 1-line block ×4, first 2 shown]
	v_mul_f64 v[68:69], v[40:41], v[106:107]
	v_add_f64 v[64:65], v[12:13], -v[22:23]
	v_fma_f64 v[20:21], v[26:27], v[116:117], v[50:51]
	v_fma_f64 v[26:27], v[28:29], v[108:109], -v[60:61]
	buffer_store_dword v108, off, s[36:39], 0 offset:1096 ; 4-byte Folded Spill
	buffer_store_dword v109, off, s[36:39], 0 offset:1100 ; 4-byte Folded Spill
	;; [unrolled: 1-line block ×4, first 2 shown]
	ds_read_b128 v[4:7], v156 offset:12096
	buffer_store_dword v112, off, s[36:39], 0 offset:1128 ; 4-byte Folded Spill
	buffer_store_dword v113, off, s[36:39], 0 offset:1132 ; 4-byte Folded Spill
	;; [unrolled: 1-line block ×4, first 2 shown]
	ds_read_b128 v[46:49], v156 offset:17136
	v_mul_f64 v[50:51], v[44:45], v[102:103]
	s_waitcnt vmcnt(3) lgkmcnt(2)
	v_mul_f64 v[60:61], v[0:1], v[88:89]
	v_add_f64 v[165:166], v[34:35], -v[26:27]
	v_fma_f64 v[24:25], v[30:31], v[108:109], v[62:63]
	v_fma_f64 v[30:31], v[38:39], v[104:105], -v[68:69]
	buffer_store_dword v104, off, s[36:39], 0 offset:1080 ; 4-byte Folded Spill
	buffer_store_dword v105, off, s[36:39], 0 offset:1084 ; 4-byte Folded Spill
	;; [unrolled: 1-line block ×4, first 2 shown]
	v_fma_f64 v[38:39], v[42:43], v[100:101], -v[50:51]
	buffer_store_dword v100, off, s[36:39], 0 offset:1064 ; 4-byte Folded Spill
	buffer_store_dword v101, off, s[36:39], 0 offset:1068 ; 4-byte Folded Spill
	;; [unrolled: 1-line block ×4, first 2 shown]
	s_waitcnt vmcnt(2) lgkmcnt(1)
	v_mul_f64 v[42:43], v[6:7], v[84:85]
	v_fma_f64 v[32:33], v[36:37], v[112:113], v[66:67]
	s_waitcnt vmcnt(1) lgkmcnt(0)
	v_mul_f64 v[50:51], v[46:47], v[80:81]
	v_add_f64 v[62:63], v[14:15], -v[10:11]
	v_add_f64 v[66:67], v[18:19], -v[16:17]
	v_fma_f64 v[126:127], v[4:5], v[82:83], -v[42:43]
	v_fma_f64 v[28:29], v[40:41], v[104:105], v[70:71]
	v_mul_f64 v[40:41], v[2:3], v[88:89]
	v_fma_f64 v[36:37], v[44:45], v[100:101], v[72:73]
	v_mul_f64 v[44:45], v[4:5], v[84:85]
	v_fma_f64 v[102:103], v[0:1], v[86:87], -v[40:41]
	buffer_store_dword v86, off, s[36:39], 0 offset:1048 ; 4-byte Folded Spill
	buffer_store_dword v87, off, s[36:39], 0 offset:1052 ; 4-byte Folded Spill
	buffer_store_dword v88, off, s[36:39], 0 offset:1056 ; 4-byte Folded Spill
	buffer_store_dword v89, off, s[36:39], 0 offset:1060 ; 4-byte Folded Spill
	buffer_store_dword v82, off, s[36:39], 0 offset:1032 ; 4-byte Folded Spill
	buffer_store_dword v83, off, s[36:39], 0 offset:1036 ; 4-byte Folded Spill
	buffer_store_dword v84, off, s[36:39], 0 offset:1040 ; 4-byte Folded Spill
	buffer_store_dword v85, off, s[36:39], 0 offset:1044 ; 4-byte Folded Spill
	v_mul_f64 v[40:41], v[48:49], v[80:81]
	v_add_f64 v[169:170], v[126:127], -v[102:103]
	v_fma_f64 v[106:107], v[46:47], v[78:79], -v[40:41]
	v_mul_lo_u16 v40, v159, 57
	v_lshrrev_b16 v151, 9, v40
	v_fma_f64 v[100:101], v[2:3], v[86:87], v[60:61]
	ds_read_b128 v[0:3], v156 offset:22176
	v_fma_f64 v[124:125], v[6:7], v[82:83], v[44:45]
	buffer_store_dword v78, off, s[36:39], 0 offset:1016 ; 4-byte Folded Spill
	buffer_store_dword v79, off, s[36:39], 0 offset:1020 ; 4-byte Folded Spill
	buffer_store_dword v80, off, s[36:39], 0 offset:1024 ; 4-byte Folded Spill
	buffer_store_dword v81, off, s[36:39], 0 offset:1028 ; 4-byte Folded Spill
	v_add_f64 v[60:61], v[8:9], -v[20:21]
	s_waitcnt vmcnt(0) lgkmcnt(0)
	v_mul_f64 v[4:5], v[2:3], v[76:77]
	v_mul_f64 v[6:7], v[0:1], v[76:77]
	v_fma_f64 v[142:143], v[0:1], v[74:75], -v[4:5]
	buffer_store_dword v74, off, s[36:39], 0 offset:1000 ; 4-byte Folded Spill
	buffer_store_dword v75, off, s[36:39], 0 offset:1004 ; 4-byte Folded Spill
	buffer_store_dword v76, off, s[36:39], 0 offset:1008 ; 4-byte Folded Spill
	buffer_store_dword v77, off, s[36:39], 0 offset:1012 ; 4-byte Folded Spill
	v_mul_lo_u16 v0, v151, 9
	v_sub_nc_u16 v0, v197, v0
	v_and_b32_e32 v152, 0xff, v0
	v_fma_f64 v[104:105], v[48:49], v[78:79], v[50:51]
	v_fma_f64 v[140:141], v[2:3], v[74:75], v[6:7]
	v_lshlrev_b32_e32 v6, 6, v152
	ds_read_b128 v[0:3], v156 offset:8064
	global_load_dwordx4 v[40:43], v6, s[2:3] offset:96
	s_waitcnt vmcnt(0) lgkmcnt(0)
	v_mul_f64 v[4:5], v[2:3], v[42:43]
	v_fma_f64 v[130:131], v[0:1], v[40:41], -v[4:5]
	v_mul_f64 v[0:1], v[0:1], v[42:43]
	buffer_store_dword v40, off, s[36:39], 0 offset:1272 ; 4-byte Folded Spill
	buffer_store_dword v41, off, s[36:39], 0 offset:1276 ; 4-byte Folded Spill
	;; [unrolled: 1-line block ×4, first 2 shown]
	global_load_dwordx4 v[42:45], v6, s[2:3] offset:112
	v_fma_f64 v[128:129], v[2:3], v[40:41], v[0:1]
	ds_read_b128 v[0:3], v156 offset:13104
	s_waitcnt vmcnt(0) lgkmcnt(0)
	v_mul_f64 v[4:5], v[2:3], v[44:45]
	v_fma_f64 v[40:41], v[0:1], v[42:43], -v[4:5]
	v_mul_f64 v[0:1], v[0:1], v[44:45]
	buffer_store_dword v42, off, s[36:39], 0 offset:1256 ; 4-byte Folded Spill
	buffer_store_dword v43, off, s[36:39], 0 offset:1260 ; 4-byte Folded Spill
	;; [unrolled: 1-line block ×4, first 2 shown]
	global_load_dwordx4 v[44:47], v6, s[2:3] offset:128
	v_fma_f64 v[42:43], v[2:3], v[42:43], v[0:1]
	ds_read_b128 v[0:3], v156 offset:18144
	s_waitcnt vmcnt(0) lgkmcnt(0)
	v_mul_f64 v[4:5], v[2:3], v[46:47]
	v_fma_f64 v[134:135], v[0:1], v[44:45], -v[4:5]
	v_mul_f64 v[0:1], v[0:1], v[46:47]
	buffer_store_dword v44, off, s[36:39], 0 offset:1288 ; 4-byte Folded Spill
	buffer_store_dword v45, off, s[36:39], 0 offset:1292 ; 4-byte Folded Spill
	;; [unrolled: 1-line block ×4, first 2 shown]
	global_load_dwordx4 v[72:75], v6, s[2:3] offset:144
	v_add_f64 v[177:178], v[40:41], -v[134:135]
	v_fma_f64 v[132:133], v[2:3], v[44:45], v[0:1]
	ds_read_b128 v[0:3], v156 offset:23184
	ds_read_b128 v[44:47], v156
	s_waitcnt vmcnt(0) lgkmcnt(1)
	v_mul_f64 v[4:5], v[2:3], v[74:75]
	v_fma_f64 v[136:137], v[0:1], v[72:73], -v[4:5]
	v_mul_f64 v[0:1], v[0:1], v[74:75]
	v_fma_f64 v[138:139], v[2:3], v[72:73], v[0:1]
	v_mov_b32_e32 v0, 0xe38f
	v_mul_u32_u24_sdwa v0, v196, v0 dst_sel:DWORD dst_unused:UNUSED_PAD src0_sel:WORD_0 src1_sel:DWORD
	v_lshrrev_b32_e32 v153, 19, v0
	v_mul_lo_u16 v0, v153, 9
	v_sub_nc_u16 v154, v196, v0
	v_lshlrev_b16 v0, 6, v154
	v_and_b32_e32 v0, 0xffff, v0
	v_add_co_u32 v4, s0, s2, v0
	v_add_co_ci_u32_e64 v5, null, s3, 0, s0
	ds_read_b128 v[0:3], v156 offset:9072
	s_mov_b32 s0, 0x4755a5e
	s_mov_b32 s1, 0x3fe2cf23
	s_clause 0x3
	global_load_dwordx4 v[76:79], v[4:5], off offset:96
	global_load_dwordx4 v[80:83], v[4:5], off offset:112
	;; [unrolled: 1-line block ×4, first 2 shown]
	s_mov_b32 s4, s0
	s_waitcnt vmcnt(3) lgkmcnt(0)
	v_mul_f64 v[6:7], v[2:3], v[78:79]
	v_fma_f64 v[110:111], v[0:1], v[76:77], -v[6:7]
	v_mul_f64 v[0:1], v[0:1], v[78:79]
	v_fma_f64 v[108:109], v[2:3], v[76:77], v[0:1]
	ds_read_b128 v[0:3], v156 offset:14112
	s_waitcnt vmcnt(2) lgkmcnt(0)
	v_mul_f64 v[6:7], v[2:3], v[82:83]
	v_fma_f64 v[112:113], v[0:1], v[80:81], -v[6:7]
	v_mul_f64 v[0:1], v[0:1], v[82:83]
	v_fma_f64 v[114:115], v[2:3], v[80:81], v[0:1]
	ds_read_b128 v[0:3], v156 offset:19152
	;; [unrolled: 6-line block ×3, first 2 shown]
	s_waitcnt vmcnt(0) lgkmcnt(0)
	v_mul_f64 v[4:5], v[2:3], v[90:91]
	v_fma_f64 v[120:121], v[0:1], v[88:89], -v[4:5]
	v_mul_f64 v[0:1], v[0:1], v[90:91]
	v_fma_f64 v[122:123], v[2:3], v[88:89], v[0:1]
	v_add_f64 v[0:1], v[12:13], -v[18:19]
	v_add_f64 v[2:3], v[22:23], -v[16:17]
	v_add_f64 v[4:5], v[0:1], v[2:3]
	v_add_f64 v[0:1], v[8:9], -v[14:15]
	v_add_f64 v[2:3], v[20:21], -v[10:11]
	v_add_f64 v[6:7], v[0:1], v[2:3]
	v_add_f64 v[0:1], v[18:19], v[16:17]
	v_fma_f64 v[48:49], v[0:1], -0.5, v[44:45]
	v_add_f64 v[0:1], v[14:15], v[10:11]
	v_fma_f64 v[50:51], v[0:1], -0.5, v[46:47]
	v_fma_f64 v[0:1], v[60:61], s[12:13], v[48:49]
	v_fma_f64 v[48:49], v[60:61], s[14:15], v[48:49]
	;; [unrolled: 1-line block ×9, first 2 shown]
	v_add_f64 v[48:49], v[12:13], v[22:23]
	v_fma_f64 v[50:51], v[66:67], s[0:1], v[50:51]
	v_fma_f64 v[2:3], v[6:7], s[16:17], v[2:3]
	v_fma_f64 v[68:69], v[48:49], -0.5, v[44:45]
	v_add_f64 v[48:49], v[8:9], v[20:21]
	v_add_f64 v[44:45], v[44:45], v[12:13]
	v_add_f64 v[12:13], v[18:19], -v[12:13]
	v_fma_f64 v[6:7], v[6:7], s[16:17], v[50:51]
	v_fma_f64 v[70:71], v[48:49], -0.5, v[46:47]
	v_add_f64 v[46:47], v[46:47], v[8:9]
	v_add_f64 v[18:19], v[44:45], v[18:19]
	v_add_f64 v[8:9], v[14:15], -v[8:9]
	v_add_f64 v[44:45], v[46:47], v[14:15]
	v_add_f64 v[14:15], v[18:19], v[16:17]
	v_add_f64 v[16:17], v[16:17], -v[22:23]
	;; [unrolled: 3-line block ×3, first 2 shown]
	v_fma_f64 v[14:15], v[62:63], s[14:15], v[68:69]
	v_fma_f64 v[22:23], v[66:67], s[14:15], v[70:71]
	v_add_f64 v[12:13], v[12:13], v[16:17]
	ds_read_b128 v[44:47], v156 offset:1008
	v_add_f64 v[50:51], v[18:19], v[20:21]
	v_fma_f64 v[18:19], v[62:63], s[12:13], v[68:69]
	v_fma_f64 v[20:21], v[66:67], s[12:13], v[70:71]
	v_add_f64 v[16:17], v[8:9], v[10:11]
	v_fma_f64 v[8:9], v[60:61], s[0:1], v[14:15]
	v_add_f64 v[68:69], v[26:27], -v[38:39]
	v_add_f64 v[66:67], v[32:33], -v[28:29]
	;; [unrolled: 1-line block ×3, first 2 shown]
	v_fma_f64 v[14:15], v[60:61], s[4:5], v[18:19]
	v_fma_f64 v[10:11], v[64:65], s[4:5], v[20:21]
	;; [unrolled: 1-line block ×4, first 2 shown]
	v_add_f64 v[64:65], v[24:25], -v[36:37]
	v_fma_f64 v[12:13], v[12:13], s[16:17], v[14:15]
	v_fma_f64 v[10:11], v[16:17], s[16:17], v[10:11]
	;; [unrolled: 1-line block ×3, first 2 shown]
	v_add_f64 v[16:17], v[26:27], -v[34:35]
	v_add_f64 v[18:19], v[38:39], -v[30:31]
	v_add_f64 v[20:21], v[16:17], v[18:19]
	v_add_f64 v[16:17], v[24:25], -v[32:33]
	v_add_f64 v[18:19], v[36:37], -v[28:29]
	v_add_f64 v[22:23], v[16:17], v[18:19]
	v_add_f64 v[16:17], v[34:35], v[30:31]
	s_waitcnt lgkmcnt(0)
	v_fma_f64 v[60:61], v[16:17], -0.5, v[44:45]
	v_add_f64 v[16:17], v[32:33], v[28:29]
	v_fma_f64 v[62:63], v[16:17], -0.5, v[46:47]
	v_fma_f64 v[16:17], v[64:65], s[12:13], v[60:61]
	v_fma_f64 v[60:61], v[64:65], s[14:15], v[60:61]
	;; [unrolled: 1-line block ×10, first 2 shown]
	v_add_f64 v[60:61], v[26:27], v[38:39]
	v_fma_f64 v[18:19], v[22:23], s[16:17], v[18:19]
	v_fma_f64 v[22:23], v[22:23], s[16:17], v[62:63]
	v_add_f64 v[62:63], v[24:25], v[36:37]
	v_fma_f64 v[60:61], v[60:61], -0.5, v[44:45]
	v_add_f64 v[44:45], v[44:45], v[26:27]
	v_fma_f64 v[62:63], v[62:63], -0.5, v[46:47]
	v_add_f64 v[46:47], v[46:47], v[24:25]
	v_add_f64 v[26:27], v[44:45], v[34:35]
	v_fma_f64 v[44:45], v[70:71], s[14:15], v[62:63]
	v_add_f64 v[34:35], v[46:47], v[32:33]
	v_add_f64 v[32:33], v[32:33], -v[24:25]
	v_add_f64 v[24:25], v[26:27], v[30:31]
	v_add_f64 v[30:31], v[30:31], -v[38:39]
	;; [unrolled: 2-line block ×3, first 2 shown]
	v_add_f64 v[24:25], v[24:25], v[38:39]
	v_fma_f64 v[34:35], v[66:67], s[14:15], v[60:61]
	v_fma_f64 v[38:39], v[70:71], s[12:13], v[62:63]
	v_add_f64 v[30:31], v[165:166], v[30:31]
	ds_read_b128 v[165:168], v156 offset:2016
	v_add_f64 v[70:71], v[126:127], -v[106:107]
	v_add_f64 v[26:27], v[26:27], v[36:37]
	v_fma_f64 v[36:37], v[66:67], s[12:13], v[60:61]
	v_add_f64 v[28:29], v[32:33], v[28:29]
	v_fma_f64 v[32:33], v[64:65], s[0:1], v[34:35]
	v_fma_f64 v[34:35], v[68:69], s[4:5], v[38:39]
	;; [unrolled: 1-line block ×3, first 2 shown]
	v_add_f64 v[68:69], v[102:103], -v[142:143]
	v_add_f64 v[66:67], v[124:125], -v[104:105]
	v_fma_f64 v[36:37], v[64:65], s[4:5], v[36:37]
	v_add_f64 v[64:65], v[100:101], -v[140:141]
	v_fma_f64 v[32:33], v[30:31], s[16:17], v[32:33]
	v_fma_f64 v[34:35], v[28:29], s[16:17], v[34:35]
	;; [unrolled: 1-line block ×3, first 2 shown]
	v_add_f64 v[28:29], v[102:103], -v[126:127]
	v_fma_f64 v[36:37], v[30:31], s[16:17], v[36:37]
	v_add_f64 v[30:31], v[142:143], -v[106:107]
	v_add_f64 v[44:45], v[28:29], v[30:31]
	v_add_f64 v[28:29], v[100:101], -v[124:125]
	v_add_f64 v[30:31], v[140:141], -v[104:105]
	v_add_f64 v[46:47], v[28:29], v[30:31]
	v_add_f64 v[28:29], v[126:127], v[106:107]
	s_waitcnt lgkmcnt(0)
	v_fma_f64 v[60:61], v[28:29], -0.5, v[165:166]
	v_add_f64 v[28:29], v[124:125], v[104:105]
	v_fma_f64 v[62:63], v[28:29], -0.5, v[167:168]
	v_fma_f64 v[28:29], v[64:65], s[12:13], v[60:61]
	v_fma_f64 v[60:61], v[64:65], s[14:15], v[60:61]
	;; [unrolled: 1-line block ×10, first 2 shown]
	v_add_f64 v[60:61], v[102:103], v[142:143]
	v_fma_f64 v[30:31], v[46:47], s[16:17], v[30:31]
	v_fma_f64 v[46:47], v[46:47], s[16:17], v[62:63]
	v_add_f64 v[62:63], v[100:101], v[140:141]
	v_fma_f64 v[60:61], v[60:61], -0.5, v[165:166]
	v_add_f64 v[165:166], v[165:166], v[102:103]
	v_fma_f64 v[62:63], v[62:63], -0.5, v[167:168]
	v_add_f64 v[167:168], v[167:168], v[100:101]
	v_add_f64 v[102:103], v[165:166], v[126:127]
	v_add_f64 v[126:127], v[167:168], v[124:125]
	v_add_f64 v[124:125], v[124:125], -v[100:101]
	v_add_f64 v[100:101], v[102:103], v[106:107]
	v_add_f64 v[106:107], v[106:107], -v[142:143]
	v_add_f64 v[102:103], v[126:127], v[104:105]
	v_add_f64 v[104:105], v[104:105], -v[140:141]
	v_fma_f64 v[126:127], v[66:67], s[14:15], v[60:61]
	v_fma_f64 v[60:61], v[66:67], s[12:13], v[60:61]
	;; [unrolled: 1-line block ×4, first 2 shown]
	v_add_f64 v[70:71], v[169:170], v[106:107]
	v_add_f64 v[100:101], v[100:101], v[142:143]
	;; [unrolled: 1-line block ×4, first 2 shown]
	v_fma_f64 v[106:107], v[64:65], s[0:1], v[126:127]
	v_fma_f64 v[60:61], v[64:65], s[4:5], v[60:61]
	;; [unrolled: 1-line block ×4, first 2 shown]
	v_add_f64 v[66:67], v[42:43], v[132:133]
	v_add_f64 v[68:69], v[128:129], -v[138:139]
	v_add_f64 v[126:127], v[130:131], -v[136:137]
	v_fma_f64 v[140:141], v[70:71], s[16:17], v[106:107]
	v_fma_f64 v[165:166], v[70:71], s[16:17], v[60:61]
	v_add_f64 v[60:61], v[130:131], -v[40:41]
	v_fma_f64 v[167:168], v[104:105], s[16:17], v[62:63]
	v_add_f64 v[62:63], v[136:137], -v[134:135]
	;; [unrolled: 2-line block ×3, first 2 shown]
	ds_read_b128 v[104:107], v156 offset:3024
	v_add_f64 v[70:71], v[42:43], -v[132:133]
	v_add_f64 v[60:61], v[60:61], v[62:63]
	v_add_f64 v[62:63], v[128:129], -v[42:43]
	s_waitcnt lgkmcnt(0)
	v_fma_f64 v[66:67], v[66:67], -0.5, v[106:107]
	v_add_f64 v[62:63], v[62:63], v[64:65]
	v_add_f64 v[64:65], v[40:41], v[134:135]
	v_fma_f64 v[169:170], v[126:127], s[14:15], v[66:67]
	v_fma_f64 v[66:67], v[126:127], s[12:13], v[66:67]
	v_fma_f64 v[64:65], v[64:65], -0.5, v[104:105]
	v_fma_f64 v[171:172], v[177:178], s[4:5], v[169:170]
	v_fma_f64 v[66:67], v[177:178], s[0:1], v[66:67]
	;; [unrolled: 1-line block ×5, first 2 shown]
	v_add_f64 v[66:67], v[106:107], v[128:129]
	v_fma_f64 v[171:172], v[62:63], s[16:17], v[171:172]
	v_add_f64 v[62:63], v[128:129], v[138:139]
	v_fma_f64 v[124:125], v[70:71], s[0:1], v[124:125]
	v_fma_f64 v[64:65], v[70:71], s[4:5], v[64:65]
	v_fma_f64 v[62:63], v[62:63], -0.5, v[106:107]
	v_add_f64 v[106:107], v[132:133], -v[138:139]
	v_fma_f64 v[169:170], v[60:61], s[16:17], v[124:125]
	v_fma_f64 v[173:174], v[60:61], s[16:17], v[64:65]
	v_add_f64 v[60:61], v[130:131], v[136:137]
	v_add_f64 v[64:65], v[104:105], v[130:131]
	v_fma_f64 v[60:61], v[60:61], -0.5, v[104:105]
	v_add_f64 v[104:105], v[40:41], -v[130:131]
	v_add_f64 v[40:41], v[64:65], v[40:41]
	v_add_f64 v[64:65], v[66:67], v[42:43]
	v_add_f64 v[66:67], v[42:43], -v[128:129]
	v_fma_f64 v[124:125], v[70:71], s[14:15], v[60:61]
	v_fma_f64 v[60:61], v[70:71], s[12:13], v[60:61]
	v_add_f64 v[40:41], v[40:41], v[134:135]
	v_add_f64 v[42:43], v[64:65], v[132:133]
	v_add_f64 v[64:65], v[134:135], -v[136:137]
	v_fma_f64 v[70:71], v[177:178], s[12:13], v[62:63]
	v_fma_f64 v[62:63], v[177:178], s[14:15], v[62:63]
	v_add_f64 v[66:67], v[66:67], v[106:107]
	v_fma_f64 v[60:61], v[68:69], s[4:5], v[60:61]
	v_add_f64 v[40:41], v[40:41], v[136:137]
	v_add_f64 v[42:43], v[42:43], v[138:139]
	;; [unrolled: 1-line block ×3, first 2 shown]
	ds_read_b128 v[136:139], v156 offset:4032
	s_waitcnt lgkmcnt(0)
	s_waitcnt_vscnt null, 0x0
	s_barrier
	buffer_gl0_inv
	v_fma_f64 v[62:63], v[126:127], s[0:1], v[62:63]
	v_fma_f64 v[104:105], v[68:69], s[0:1], v[124:125]
	;; [unrolled: 1-line block ×3, first 2 shown]
	v_add_f64 v[70:71], v[110:111], -v[120:121]
	v_fma_f64 v[132:133], v[64:65], s[16:17], v[60:61]
	v_mul_u32_u24_sdwa v60, v149, v155 dst_sel:DWORD dst_unused:UNUSED_PAD src0_sel:WORD_0 src1_sel:DWORD
	v_fma_f64 v[134:135], v[66:67], s[16:17], v[62:63]
	v_add_lshl_u32 v177, v60, v150, 4
	v_add_f64 v[60:61], v[122:123], -v[116:117]
	v_add_f64 v[62:63], v[114:115], v[116:117]
	v_fma_f64 v[128:129], v[64:65], s[16:17], v[104:105]
	v_add_f64 v[64:65], v[108:109], -v[122:123]
	ds_write_b128 v177, v[48:51]
	v_add_f64 v[48:49], v[110:111], -v[112:113]
	v_add_f64 v[50:51], v[120:121], -v[118:119]
	v_fma_f64 v[130:131], v[66:67], s[16:17], v[68:69]
	v_add_f64 v[66:67], v[114:115], -v[116:117]
	v_add_f64 v[149:150], v[112:113], -v[118:119]
	ds_write_b128 v177, v[0:3] offset:144
	ds_write_b128 v177, v[8:11] offset:288
	;; [unrolled: 1-line block ×3, first 2 shown]
	v_mul_u32_u24_sdwa v0, v145, v155 dst_sel:DWORD dst_unused:UNUSED_PAD src0_sel:WORD_0 src1_sel:DWORD
	buffer_store_dword v177, off, s[36:39], 0 offset:496 ; 4-byte Folded Spill
	ds_write_b128 v177, v[4:7] offset:576
                                        ; implicit-def: $vgpr4_vgpr5
	v_add_lshl_u32 v0, v0, v146, 4
	ds_write_b128 v0, v[24:27]
	ds_write_b128 v0, v[16:19] offset:144
	ds_write_b128 v0, v[32:35] offset:288
	;; [unrolled: 1-line block ×3, first 2 shown]
	buffer_store_dword v0, off, s[36:39], 0 offset:788 ; 4-byte Folded Spill
	v_fma_f64 v[62:63], v[62:63], -0.5, v[138:139]
	ds_write_b128 v0, v[20:23] offset:576
	v_mul_u32_u24_sdwa v0, v147, v155 dst_sel:DWORD dst_unused:UNUSED_PAD src0_sel:WORD_0 src1_sel:DWORD
	v_add_f64 v[48:49], v[48:49], v[50:51]
	v_add_f64 v[50:51], v[108:109], -v[114:115]
	v_add_lshl_u32 v0, v0, v148, 4
	ds_write_b128 v0, v[100:103]
	ds_write_b128 v0, v[28:31] offset:144
	ds_write_b128 v0, v[140:143] offset:288
	;; [unrolled: 1-line block ×3, first 2 shown]
	buffer_store_dword v0, off, s[36:39], 0 offset:768 ; 4-byte Folded Spill
	ds_write_b128 v0, v[44:47] offset:576
	v_mul_u32_u24_sdwa v0, v151, v155 dst_sel:DWORD dst_unused:UNUSED_PAD src0_sel:WORD_0 src1_sel:DWORD
	v_add_lshl_u32 v0, v0, v152, 4
	ds_write_b128 v0, v[40:43]
	ds_write_b128 v0, v[169:172] offset:144
	ds_write_b128 v0, v[128:131] offset:288
	;; [unrolled: 1-line block ×3, first 2 shown]
	v_fma_f64 v[104:105], v[70:71], s[14:15], v[62:63]
	v_fma_f64 v[62:63], v[70:71], s[12:13], v[62:63]
	v_add_f64 v[50:51], v[50:51], v[60:61]
	v_add_f64 v[60:61], v[112:113], v[118:119]
	buffer_store_dword v0, off, s[36:39], 0 offset:748 ; 4-byte Folded Spill
	ds_write_b128 v0, v[173:176] offset:576
	v_mad_u16 v0, v153, 45, v154
	v_lshlrev_b32_sdwa v0, v144, v0 dst_sel:DWORD dst_unused:UNUSED_PAD src0_sel:DWORD src1_sel:WORD_0
	v_fma_f64 v[104:105], v[149:150], s[4:5], v[104:105]
	v_fma_f64 v[62:63], v[149:150], s[0:1], v[62:63]
	v_fma_f64 v[60:61], v[60:61], -0.5, v[136:137]
	v_fma_f64 v[126:127], v[50:51], s[16:17], v[104:105]
	v_fma_f64 v[106:107], v[50:51], s[16:17], v[62:63]
	v_add_f64 v[50:51], v[138:139], v[108:109]
	v_fma_f64 v[68:69], v[64:65], s[12:13], v[60:61]
	v_fma_f64 v[60:61], v[64:65], s[14:15], v[60:61]
	v_add_f64 v[50:51], v[50:51], v[114:115]
	;; [unrolled: 3-line block ×4, first 2 shown]
	v_add_f64 v[68:69], v[112:113], -v[110:111]
	v_add_f64 v[50:51], v[50:51], v[122:123]
	v_fma_f64 v[60:61], v[48:49], -0.5, v[136:137]
	v_add_f64 v[48:49], v[108:109], v[122:123]
	v_add_f64 v[108:109], v[114:115], -v[108:109]
	v_fma_f64 v[114:115], v[66:67], s[14:15], v[60:61]
	v_fma_f64 v[62:63], v[48:49], -0.5, v[138:139]
	v_add_f64 v[48:49], v[136:137], v[110:111]
	v_add_f64 v[110:111], v[118:119], -v[120:121]
	v_fma_f64 v[60:61], v[66:67], s[12:13], v[60:61]
	v_fma_f64 v[66:67], v[149:150], s[12:13], v[62:63]
	v_add_f64 v[48:49], v[48:49], v[112:113]
	v_add_f64 v[112:113], v[116:117], -v[122:123]
	v_fma_f64 v[62:63], v[149:150], s[14:15], v[62:63]
	v_add_f64 v[68:69], v[68:69], v[110:111]
	v_fma_f64 v[60:61], v[64:65], s[4:5], v[60:61]
	v_add_f64 v[48:49], v[48:49], v[118:119]
	v_add_f64 v[116:117], v[108:109], v[112:113]
	v_fma_f64 v[108:109], v[64:65], s[0:1], v[114:115]
	v_fma_f64 v[64:65], v[70:71], s[4:5], v[66:67]
	;; [unrolled: 1-line block ×4, first 2 shown]
	v_cmp_gt_u16_e64 s0, 36, v163
	v_add_f64 v[48:49], v[48:49], v[120:121]
	v_fma_f64 v[108:109], v[68:69], s[16:17], v[108:109]
	v_fma_f64 v[110:111], v[116:117], s[16:17], v[64:65]
	;; [unrolled: 1-line block ×3, first 2 shown]
	ds_write_b128 v0, v[48:51]
	ds_write_b128 v0, v[124:127] offset:144
	ds_write_b128 v0, v[108:111] offset:288
	;; [unrolled: 1-line block ×3, first 2 shown]
	buffer_store_dword v0, off, s[36:39], 0 offset:744 ; 4-byte Folded Spill
	ds_write_b128 v0, v[104:107] offset:576
	s_waitcnt lgkmcnt(0)
	s_waitcnt_vscnt null, 0x0
	s_barrier
	buffer_gl0_inv
	ds_read_b128 v[0:3], v156
	ds_read_b128 v[116:119], v156 offset:1008
	ds_read_b128 v[140:143], v156 offset:7200
	;; [unrolled: 1-line block ×20, first 2 shown]
	s_and_saveexec_b32 s1, s0
	s_cbranch_execz .LBB0_13
; %bb.12:
	ds_read_b128 v[124:127], v156 offset:3024
	ds_read_b128 v[108:111], v156 offset:6624
	;; [unrolled: 1-line block ×7, first 2 shown]
.LBB0_13:
	s_or_b32 exec_lo, exec_lo, s1
	v_subrev_nc_u32_e32 v40, 45, v163
	v_cmp_gt_u16_e64 s1, 45, v163
	v_mov_b32_e32 v202, v163
	s_mov_b32 s14, 0x37e14327
	s_mov_b32 s4, 0x36b3c0b5
	;; [unrolled: 1-line block ×3, first 2 shown]
	v_cndmask_b32_e64 v167, v40, v163, s1
	s_mov_b32 s12, 0x429ad128
	s_mov_b32 s15, 0x3fe948f6
	;; [unrolled: 1-line block ×4, first 2 shown]
	v_mul_i32_i24_e32 v41, 0x60, v167
	v_mul_hi_i32_i24_e32 v40, 0x60, v167
	s_mov_b32 s13, 0x3febfeb5
	s_mov_b32 s18, 0xaaaaaaaa
	s_mov_b32 s20, 0x5476071b
	v_add_co_u32 v60, s1, s2, v41
	v_add_co_ci_u32_e64 v61, s1, s3, v40, s1
	s_mov_b32 s24, 0xb247c609
	s_mov_b32 s19, 0xbff2aaaa
	s_clause 0x3
	global_load_dwordx4 v[64:67], v[60:61], off offset:720
	global_load_dwordx4 v[68:71], v[60:61], off offset:704
	;; [unrolled: 1-line block ×4, first 2 shown]
	s_mov_b32 s21, 0x3fe77f67
	s_mov_b32 s23, 0xbfe77f67
	;; [unrolled: 1-line block ×8, first 2 shown]
	v_cmp_lt_u16_e64 s1, 44, v202
	s_waitcnt vmcnt(1) lgkmcnt(18)
	v_mul_f64 v[62:63], v[140:141], v[170:171]
	s_waitcnt vmcnt(0) lgkmcnt(12)
	v_mul_f64 v[40:41], v[154:155], v[174:175]
	v_mul_f64 v[42:43], v[152:153], v[174:175]
	v_fma_f64 v[40:41], v[152:153], v[172:173], -v[40:41]
	buffer_store_dword v172, off, s[36:39], 0 offset:856 ; 4-byte Folded Spill
	buffer_store_dword v173, off, s[36:39], 0 offset:860 ; 4-byte Folded Spill
	;; [unrolled: 1-line block ×4, first 2 shown]
	v_fma_f64 v[152:153], v[154:155], v[172:173], v[42:43]
	v_mul_f64 v[42:43], v[142:143], v[170:171]
	v_fma_f64 v[42:43], v[140:141], v[168:169], -v[42:43]
	buffer_store_dword v168, off, s[36:39], 0 offset:824 ; 4-byte Folded Spill
	buffer_store_dword v169, off, s[36:39], 0 offset:828 ; 4-byte Folded Spill
	;; [unrolled: 1-line block ×4, first 2 shown]
	v_fma_f64 v[142:143], v[142:143], v[168:169], v[62:63]
	s_waitcnt lgkmcnt(8)
	v_mul_f64 v[62:63], v[150:151], v[70:71]
	v_fma_f64 v[140:141], v[148:149], v[68:69], -v[62:63]
	v_mul_f64 v[62:63], v[148:149], v[70:71]
	buffer_store_dword v68, off, s[36:39], 0 offset:808 ; 4-byte Folded Spill
	buffer_store_dword v69, off, s[36:39], 0 offset:812 ; 4-byte Folded Spill
	;; [unrolled: 1-line block ×4, first 2 shown]
	v_fma_f64 v[148:149], v[150:151], v[68:69], v[62:63]
	v_mul_f64 v[62:63], v[138:139], v[66:67]
	v_fma_f64 v[150:151], v[136:137], v[64:65], -v[62:63]
	v_mul_f64 v[62:63], v[136:137], v[66:67]
	buffer_store_dword v64, off, s[36:39], 0 offset:792 ; 4-byte Folded Spill
	buffer_store_dword v65, off, s[36:39], 0 offset:796 ; 4-byte Folded Spill
	;; [unrolled: 1-line block ×4, first 2 shown]
	v_fma_f64 v[136:137], v[138:139], v[64:65], v[62:63]
	s_clause 0x1
	global_load_dwordx4 v[62:65], v[60:61], off offset:752
	global_load_dwordx4 v[66:69], v[60:61], off offset:736
	s_waitcnt vmcnt(0) lgkmcnt(4)
	v_mul_f64 v[60:61], v[146:147], v[68:69]
	v_fma_f64 v[138:139], v[144:145], v[66:67], -v[60:61]
	v_mul_f64 v[60:61], v[144:145], v[68:69]
	buffer_store_dword v66, off, s[36:39], 0 offset:840 ; 4-byte Folded Spill
	buffer_store_dword v67, off, s[36:39], 0 offset:844 ; 4-byte Folded Spill
	;; [unrolled: 1-line block ×4, first 2 shown]
	v_fma_f64 v[144:145], v[146:147], v[66:67], v[60:61]
	v_mul_f64 v[60:61], v[134:135], v[64:65]
	v_fma_f64 v[146:147], v[132:133], v[62:63], -v[60:61]
	v_mul_f64 v[60:61], v[132:133], v[64:65]
	buffer_store_dword v62, off, s[36:39], 0 offset:728 ; 4-byte Folded Spill
	buffer_store_dword v63, off, s[36:39], 0 offset:732 ; 4-byte Folded Spill
	;; [unrolled: 1-line block ×4, first 2 shown]
	v_fma_f64 v[132:133], v[134:135], v[62:63], v[60:61]
	v_mul_lo_u16 v60, 0x6d, v162
	v_lshrrev_b16 v60, 8, v60
	v_sub_nc_u16 v61, v160, v60
	v_lshrrev_b16 v61, 1, v61
	v_and_b32_e32 v61, 0x7f, v61
	v_add_nc_u16 v60, v61, v60
	v_lshrrev_b16 v163, 5, v60
	v_mul_lo_u16 v60, v163, 45
	v_sub_nc_u16 v60, v160, v60
	v_and_b32_e32 v165, 0xff, v60
	v_mad_u64_u32 v[60:61], null, 0x60, v165, s[2:3]
	s_clause 0x3
	global_load_dwordx4 v[64:67], v[60:61], off offset:720
	global_load_dwordx4 v[68:71], v[60:61], off offset:704
	;; [unrolled: 1-line block ×4, first 2 shown]
	s_waitcnt vmcnt(0)
	v_mul_f64 v[62:63], v[130:131], v[174:175]
	v_fma_f64 v[134:135], v[128:129], v[172:173], -v[62:63]
	v_mul_f64 v[62:63], v[128:129], v[174:175]
	buffer_store_dword v172, off, s[36:39], 0 offset:984 ; 4-byte Folded Spill
	buffer_store_dword v173, off, s[36:39], 0 offset:988 ; 4-byte Folded Spill
	;; [unrolled: 1-line block ×4, first 2 shown]
	v_fma_f64 v[130:131], v[130:131], v[172:173], v[62:63]
	v_mul_f64 v[62:63], v[34:35], v[170:171]
	v_fma_f64 v[128:129], v[32:33], v[168:169], -v[62:63]
	v_mul_f64 v[32:33], v[32:33], v[170:171]
	buffer_store_dword v168, off, s[36:39], 0 offset:968 ; 4-byte Folded Spill
	buffer_store_dword v169, off, s[36:39], 0 offset:972 ; 4-byte Folded Spill
	;; [unrolled: 1-line block ×4, first 2 shown]
	v_mul_f64 v[62:63], v[120:121], v[70:71]
	v_fma_f64 v[34:35], v[34:35], v[168:169], v[32:33]
	v_mul_f64 v[32:33], v[122:123], v[70:71]
	v_fma_f64 v[32:33], v[120:121], v[68:69], -v[32:33]
	buffer_store_dword v68, off, s[36:39], 0 offset:936 ; 4-byte Folded Spill
	buffer_store_dword v69, off, s[36:39], 0 offset:940 ; 4-byte Folded Spill
	buffer_store_dword v70, off, s[36:39], 0 offset:944 ; 4-byte Folded Spill
	buffer_store_dword v71, off, s[36:39], 0 offset:948 ; 4-byte Folded Spill
	v_fma_f64 v[120:121], v[122:123], v[68:69], v[62:63]
	v_mul_f64 v[62:63], v[30:31], v[66:67]
	v_fma_f64 v[122:123], v[28:29], v[64:65], -v[62:63]
	v_mul_f64 v[28:29], v[28:29], v[66:67]
	buffer_store_dword v64, off, s[36:39], 0 offset:904 ; 4-byte Folded Spill
	buffer_store_dword v65, off, s[36:39], 0 offset:908 ; 4-byte Folded Spill
	;; [unrolled: 1-line block ×4, first 2 shown]
	v_fma_f64 v[28:29], v[30:31], v[64:65], v[28:29]
	s_clause 0x1
	global_load_dwordx4 v[62:65], v[60:61], off offset:752
	global_load_dwordx4 v[66:69], v[60:61], off offset:736
	s_waitcnt vmcnt(0) lgkmcnt(2)
	v_mul_f64 v[30:31], v[46:47], v[68:69]
	v_fma_f64 v[30:31], v[44:45], v[66:67], -v[30:31]
	v_mul_f64 v[44:45], v[44:45], v[68:69]
	buffer_store_dword v66, off, s[36:39], 0 offset:952 ; 4-byte Folded Spill
	buffer_store_dword v67, off, s[36:39], 0 offset:956 ; 4-byte Folded Spill
	;; [unrolled: 1-line block ×4, first 2 shown]
	v_fma_f64 v[44:45], v[46:47], v[66:67], v[44:45]
	v_mul_f64 v[46:47], v[26:27], v[64:65]
	v_fma_f64 v[46:47], v[24:25], v[62:63], -v[46:47]
	v_mul_f64 v[24:25], v[24:25], v[64:65]
	buffer_store_dword v62, off, s[36:39], 0 offset:920 ; 4-byte Folded Spill
	buffer_store_dword v63, off, s[36:39], 0 offset:924 ; 4-byte Folded Spill
	;; [unrolled: 1-line block ×4, first 2 shown]
	v_fma_f64 v[24:25], v[26:27], v[62:63], v[24:25]
	v_mul_lo_u16 v26, 0x6d, v161
	v_lshrrev_b16 v26, 8, v26
	v_sub_nc_u16 v27, v164, v26
	v_lshrrev_b16 v27, 1, v27
	v_and_b32_e32 v27, 0x7f, v27
	v_add_nc_u16 v26, v27, v26
	v_lshrrev_b16 v166, 5, v26
	v_mul_lo_u16 v26, v166, 45
	v_sub_nc_u16 v26, v164, v26
	v_and_b32_e32 v162, 0xff, v26
	v_mad_u64_u32 v[60:61], null, 0x60, v162, s[2:3]
	s_clause 0x3
	global_load_dwordx4 v[62:65], v[60:61], off offset:720
	global_load_dwordx4 v[66:69], v[60:61], off offset:704
	;; [unrolled: 1-line block ×4, first 2 shown]
	s_waitcnt vmcnt(0)
	v_mul_f64 v[26:27], v[50:51], v[174:175]
	v_fma_f64 v[26:27], v[48:49], v[172:173], -v[26:27]
	v_mul_f64 v[48:49], v[48:49], v[174:175]
	buffer_store_dword v172, off, s[36:39], 0 offset:1224 ; 4-byte Folded Spill
	buffer_store_dword v173, off, s[36:39], 0 offset:1228 ; 4-byte Folded Spill
	buffer_store_dword v174, off, s[36:39], 0 offset:1232 ; 4-byte Folded Spill
	buffer_store_dword v175, off, s[36:39], 0 offset:1236 ; 4-byte Folded Spill
	v_fma_f64 v[50:51], v[50:51], v[172:173], v[48:49]
	v_mul_f64 v[48:49], v[38:39], v[170:171]
	v_fma_f64 v[48:49], v[36:37], v[168:169], -v[48:49]
	v_mul_f64 v[36:37], v[36:37], v[170:171]
	buffer_store_dword v168, off, s[36:39], 0 offset:1176 ; 4-byte Folded Spill
	buffer_store_dword v169, off, s[36:39], 0 offset:1180 ; 4-byte Folded Spill
	buffer_store_dword v170, off, s[36:39], 0 offset:1184 ; 4-byte Folded Spill
	buffer_store_dword v171, off, s[36:39], 0 offset:1188 ; 4-byte Folded Spill
	v_fma_f64 v[38:39], v[38:39], v[168:169], v[36:37]
	;; [unrolled: 8-line block ×4, first 2 shown]
	s_clause 0x1
	global_load_dwordx4 v[62:65], v[60:61], off offset:752
	global_load_dwordx4 v[66:69], v[60:61], off offset:736
	s_waitcnt vmcnt(0) lgkmcnt(1)
	v_mul_f64 v[18:19], v[14:15], v[68:69]
	v_fma_f64 v[18:19], v[12:13], v[66:67], -v[18:19]
	v_mul_f64 v[12:13], v[12:13], v[68:69]
	buffer_store_dword v66, off, s[36:39], 0 offset:1240 ; 4-byte Folded Spill
	buffer_store_dword v67, off, s[36:39], 0 offset:1244 ; 4-byte Folded Spill
	;; [unrolled: 1-line block ×4, first 2 shown]
	v_fma_f64 v[12:13], v[14:15], v[66:67], v[12:13]
	s_waitcnt lgkmcnt(0)
	v_mul_f64 v[14:15], v[10:11], v[64:65]
	v_fma_f64 v[14:15], v[8:9], v[62:63], -v[14:15]
	v_mul_f64 v[8:9], v[8:9], v[64:65]
	buffer_store_dword v62, off, s[36:39], 0 offset:1192 ; 4-byte Folded Spill
	buffer_store_dword v63, off, s[36:39], 0 offset:1196 ; 4-byte Folded Spill
	;; [unrolled: 1-line block ×4, first 2 shown]
	v_fma_f64 v[8:9], v[10:11], v[62:63], v[8:9]
	v_mul_lo_u16 v10, 0x6d, v159
	v_lshrrev_b16 v10, 8, v10
	v_sub_nc_u16 v11, v197, v10
	v_lshrrev_b16 v11, 1, v11
	v_and_b32_e32 v11, 0x7f, v11
	v_add_nc_u16 v10, v11, v10
	v_lshrrev_b16 v10, 5, v10
	v_mul_lo_u16 v10, v10, 45
	v_sub_nc_u16 v10, v197, v10
	v_and_b32_e32 v161, 0xff, v10
	buffer_store_dword v10, off, s[36:39], 0 offset:1324 ; 4-byte Folded Spill
	v_mad_u64_u32 v[10:11], null, 0x60, v161, s[2:3]
	s_clause 0x3
	global_load_dwordx4 v[168:171], v[10:11], off offset:720
	global_load_dwordx4 v[172:175], v[10:11], off offset:704
	;; [unrolled: 1-line block ×4, first 2 shown]
	s_waitcnt vmcnt(0)
	v_mul_f64 v[60:61], v[110:111], v[66:67]
	v_mul_f64 v[62:63], v[108:109], v[66:67]
	v_fma_f64 v[60:61], v[108:109], v[64:65], -v[60:61]
	buffer_store_dword v64, off, s[36:39], 0 offset:1376 ; 4-byte Folded Spill
	buffer_store_dword v65, off, s[36:39], 0 offset:1380 ; 4-byte Folded Spill
	;; [unrolled: 1-line block ×4, first 2 shown]
	v_mul_f64 v[66:67], v[112:113], v[70:71]
	v_add_f64 v[108:109], v[142:143], -v[144:145]
	v_fma_f64 v[62:63], v[110:111], v[64:65], v[62:63]
	v_mul_f64 v[64:65], v[114:115], v[70:71]
	v_add_f64 v[110:111], v[140:141], v[150:151]
	v_fma_f64 v[64:65], v[112:113], v[68:69], -v[64:65]
	buffer_store_dword v68, off, s[36:39], 0 offset:1360 ; 4-byte Folded Spill
	buffer_store_dword v69, off, s[36:39], 0 offset:1364 ; 4-byte Folded Spill
	buffer_store_dword v70, off, s[36:39], 0 offset:1368 ; 4-byte Folded Spill
	buffer_store_dword v71, off, s[36:39], 0 offset:1372 ; 4-byte Folded Spill
	v_mul_f64 v[70:71], v[104:105], v[174:175]
	v_add_f64 v[112:113], v[148:149], v[136:137]
	v_fma_f64 v[66:67], v[114:115], v[68:69], v[66:67]
	v_mul_f64 v[68:69], v[106:107], v[174:175]
	v_add_f64 v[114:115], v[150:151], -v[140:141]
	v_fma_f64 v[68:69], v[104:105], v[172:173], -v[68:69]
	buffer_store_dword v172, off, s[36:39], 0 offset:1344 ; 4-byte Folded Spill
	buffer_store_dword v173, off, s[36:39], 0 offset:1348 ; 4-byte Folded Spill
	buffer_store_dword v174, off, s[36:39], 0 offset:1352 ; 4-byte Folded Spill
	buffer_store_dword v175, off, s[36:39], 0 offset:1356 ; 4-byte Folded Spill
	v_mul_f64 v[104:105], v[98:99], v[170:171]
	v_fma_f64 v[70:71], v[106:107], v[172:173], v[70:71]
	v_fma_f64 v[172:173], v[96:97], v[168:169], -v[104:105]
	v_mul_f64 v[96:97], v[96:97], v[170:171]
	buffer_store_dword v168, off, s[36:39], 0 offset:1328 ; 4-byte Folded Spill
	buffer_store_dword v169, off, s[36:39], 0 offset:1332 ; 4-byte Folded Spill
	;; [unrolled: 1-line block ×4, first 2 shown]
	v_fma_f64 v[174:175], v[98:99], v[168:169], v[96:97]
	s_clause 0x1
	global_load_dwordx4 v[96:99], v[10:11], off offset:752
	global_load_dwordx4 v[104:107], v[10:11], off offset:736
	s_waitcnt vmcnt(0)
	v_mul_f64 v[10:11], v[94:95], v[106:107]
	v_fma_f64 v[10:11], v[92:93], v[104:105], -v[10:11]
	v_mul_f64 v[92:93], v[92:93], v[106:107]
	buffer_store_dword v104, off, s[36:39], 0 offset:1408 ; 4-byte Folded Spill
	buffer_store_dword v105, off, s[36:39], 0 offset:1412 ; 4-byte Folded Spill
	;; [unrolled: 1-line block ×4, first 2 shown]
	v_add_f64 v[106:107], v[142:143], v[144:145]
	v_fma_f64 v[92:93], v[94:95], v[104:105], v[92:93]
	v_mul_f64 v[94:95], v[6:7], v[98:99]
	v_add_f64 v[104:105], v[42:43], v[138:139]
	v_add_f64 v[42:43], v[42:43], -v[138:139]
	v_fma_f64 v[94:95], v[4:5], v[96:97], -v[94:95]
	v_mul_f64 v[4:5], v[4:5], v[98:99]
	buffer_store_dword v96, off, s[36:39], 0 offset:1392 ; 4-byte Folded Spill
	buffer_store_dword v97, off, s[36:39], 0 offset:1396 ; 4-byte Folded Spill
	;; [unrolled: 1-line block ×4, first 2 shown]
	v_add_f64 v[98:99], v[152:153], -v[132:133]
	v_add_f64 v[144:145], v[114:115], v[42:43]
	v_fma_f64 v[4:5], v[6:7], v[96:97], v[4:5]
	v_add_f64 v[6:7], v[40:41], v[146:147]
	v_add_f64 v[96:97], v[152:153], v[132:133]
	v_add_f64 v[40:41], v[40:41], -v[146:147]
	v_add_f64 v[132:133], v[136:137], -v[148:149]
	;; [unrolled: 1-line block ×3, first 2 shown]
	v_add_f64 v[136:137], v[104:105], v[6:7]
	v_add_f64 v[138:139], v[106:107], v[96:97]
	v_add_f64 v[140:141], v[104:105], -v[6:7]
	v_add_f64 v[142:143], v[106:107], -v[96:97]
	;; [unrolled: 1-line block ×6, first 2 shown]
	v_add_f64 v[146:147], v[132:133], v[108:109]
	v_add_f64 v[150:151], v[132:133], -v[108:109]
	v_add_f64 v[152:153], v[42:43], -v[40:41]
	;; [unrolled: 1-line block ×5, first 2 shown]
	v_add_f64 v[110:111], v[110:111], v[136:137]
	v_add_f64 v[112:113], v[112:113], v[138:139]
	;; [unrolled: 1-line block ×3, first 2 shown]
	v_mul_f64 v[138:139], v[148:149], s[16:17]
	v_add_f64 v[98:99], v[146:147], v[98:99]
	v_mul_f64 v[144:145], v[150:151], s[16:17]
	v_mul_f64 v[146:147], v[152:153], s[12:13]
	;; [unrolled: 1-line block ×3, first 2 shown]
	v_add_f64 v[40:41], v[0:1], v[110:111]
	v_add_f64 v[42:43], v[2:3], v[112:113]
	v_mul_f64 v[0:1], v[6:7], s[14:15]
	v_mul_f64 v[2:3], v[96:97], s[14:15]
	;; [unrolled: 1-line block ×4, first 2 shown]
	v_fma_f64 v[108:109], v[108:109], s[12:13], -v[144:145]
	v_fma_f64 v[110:111], v[110:111], s[18:19], v[40:41]
	v_fma_f64 v[112:113], v[112:113], s[18:19], v[42:43]
	;; [unrolled: 1-line block ×4, first 2 shown]
	v_fma_f64 v[6:7], v[140:141], s[20:21], -v[6:7]
	v_fma_f64 v[96:97], v[142:143], s[20:21], -v[96:97]
	;; [unrolled: 1-line block ×4, first 2 shown]
	v_fma_f64 v[140:141], v[114:115], s[24:25], v[138:139]
	v_fma_f64 v[142:143], v[132:133], s[24:25], v[144:145]
	v_fma_f64 v[138:139], v[152:153], s[12:13], -v[138:139]
	v_fma_f64 v[114:115], v[114:115], s[26:27], -v[146:147]
	;; [unrolled: 1-line block ×3, first 2 shown]
	v_fma_f64 v[108:109], v[98:99], s[28:29], v[108:109]
	v_add_f64 v[104:105], v[104:105], v[110:111]
	v_add_f64 v[106:107], v[106:107], v[112:113]
	;; [unrolled: 1-line block ×6, first 2 shown]
	v_fma_f64 v[110:111], v[136:137], s[28:29], v[140:141]
	v_fma_f64 v[112:113], v[98:99], s[28:29], v[142:143]
	;; [unrolled: 1-line block ×5, first 2 shown]
	v_add_f64 v[184:185], v[6:7], -v[108:109]
	v_add_f64 v[188:189], v[108:109], v[6:7]
	v_add_f64 v[6:7], v[134:135], -v[46:47]
	v_add_f64 v[170:171], v[106:107], -v[110:111]
	v_add_f64 v[168:169], v[112:113], v[104:105]
	v_add_f64 v[186:187], v[138:139], v[96:97]
	v_add_f64 v[182:183], v[2:3], -v[114:115]
	v_add_f64 v[180:181], v[98:99], v[0:1]
	v_add_f64 v[190:191], v[96:97], -v[138:139]
	v_add_f64 v[192:193], v[0:1], -v[98:99]
	v_add_f64 v[194:195], v[114:115], v[2:3]
	v_add_f64 v[0:1], v[134:135], v[46:47]
	;; [unrolled: 1-line block ×5, first 2 shown]
	v_add_f64 v[198:199], v[104:105], -v[112:113]
	v_add_f64 v[200:201], v[110:111], v[106:107]
	v_add_f64 v[24:25], v[130:131], -v[24:25]
	v_add_f64 v[30:31], v[128:129], -v[30:31]
	;; [unrolled: 1-line block ×3, first 2 shown]
	v_add_f64 v[44:45], v[32:33], v[122:123]
	v_add_f64 v[98:99], v[120:121], v[28:29]
	v_add_f64 v[32:33], v[122:123], -v[32:33]
	v_add_f64 v[28:29], v[28:29], -v[120:121]
	v_add_f64 v[104:105], v[46:47], v[0:1]
	v_add_f64 v[106:107], v[96:97], v[2:3]
	v_add_f64 v[108:109], v[46:47], -v[0:1]
	v_add_f64 v[110:111], v[96:97], -v[2:3]
	;; [unrolled: 1-line block ×6, first 2 shown]
	v_add_f64 v[112:113], v[32:33], v[30:31]
	v_add_f64 v[114:115], v[28:29], v[34:35]
	v_add_f64 v[120:121], v[32:33], -v[30:31]
	v_add_f64 v[122:123], v[28:29], -v[34:35]
	;; [unrolled: 1-line block ×6, first 2 shown]
	v_add_f64 v[44:45], v[44:45], v[104:105]
	v_add_f64 v[98:99], v[98:99], v[106:107]
	v_mul_f64 v[0:1], v[0:1], s[14:15]
	v_mul_f64 v[2:3], v[2:3], s[14:15]
	;; [unrolled: 1-line block ×4, first 2 shown]
	v_add_f64 v[6:7], v[112:113], v[6:7]
	v_add_f64 v[24:25], v[114:115], v[24:25]
	v_mul_f64 v[112:113], v[120:121], s[16:17]
	v_mul_f64 v[114:115], v[122:123], s[16:17]
	v_add_f64 v[128:129], v[116:117], v[44:45]
	v_add_f64 v[130:131], v[118:119], v[98:99]
	v_mul_f64 v[116:117], v[30:31], s[12:13]
	v_mul_f64 v[118:119], v[34:35], s[12:13]
	v_fma_f64 v[46:47], v[46:47], s[4:5], v[0:1]
	v_fma_f64 v[96:97], v[96:97], s[4:5], v[2:3]
	v_fma_f64 v[104:105], v[108:109], s[20:21], -v[104:105]
	v_fma_f64 v[106:107], v[110:111], s[20:21], -v[106:107]
	;; [unrolled: 1-line block ×4, first 2 shown]
	v_fma_f64 v[108:109], v[32:33], s[24:25], v[112:113]
	v_fma_f64 v[110:111], v[28:29], s[24:25], v[114:115]
	v_fma_f64 v[30:31], v[30:31], s[12:13], -v[112:113]
	v_fma_f64 v[34:35], v[34:35], s[12:13], -v[114:115]
	v_fma_f64 v[44:45], v[44:45], s[18:19], v[128:129]
	v_fma_f64 v[98:99], v[98:99], s[18:19], v[130:131]
	v_fma_f64 v[32:33], v[32:33], s[26:27], -v[116:117]
	v_fma_f64 v[28:29], v[28:29], s[26:27], -v[118:119]
	v_fma_f64 v[30:31], v[6:7], s[28:29], v[30:31]
	v_fma_f64 v[34:35], v[24:25], s[28:29], v[34:35]
	v_add_f64 v[46:47], v[46:47], v[44:45]
	v_add_f64 v[96:97], v[96:97], v[98:99]
	;; [unrolled: 1-line block ×6, first 2 shown]
	v_fma_f64 v[44:45], v[6:7], s[28:29], v[108:109]
	v_fma_f64 v[98:99], v[24:25], s[28:29], v[110:111]
	v_fma_f64 v[6:7], v[6:7], s[28:29], v[32:33]
	v_fma_f64 v[24:25], v[24:25], s[28:29], v[28:29]
	v_add_f64 v[28:29], v[20:21], v[16:17]
	v_add_f64 v[16:17], v[16:17], -v[20:21]
	v_add_f64 v[140:141], v[104:105], -v[34:35]
	v_add_f64 v[142:143], v[30:31], v[106:107]
	v_add_f64 v[146:147], v[106:107], -v[30:31]
	v_add_f64 v[144:145], v[34:35], v[104:105]
	;; [unrolled: 2-line block ×5, first 2 shown]
	v_add_f64 v[0:1], v[26:27], v[14:15]
	v_add_f64 v[2:3], v[50:51], v[8:9]
	v_add_f64 v[6:7], v[26:27], -v[14:15]
	v_add_f64 v[14:15], v[48:49], v[18:19]
	v_add_f64 v[24:25], v[38:39], v[12:13]
	v_add_f64 v[8:9], v[50:51], -v[8:9]
	v_add_f64 v[18:19], v[48:49], -v[18:19]
	;; [unrolled: 1-line block ×3, first 2 shown]
	v_add_f64 v[26:27], v[36:37], v[22:23]
	v_add_f64 v[22:23], v[22:23], -v[36:37]
	v_add_f64 v[152:153], v[46:47], -v[98:99]
	v_add_f64 v[154:155], v[44:45], v[96:97]
	v_add_f64 v[20:21], v[14:15], v[0:1]
	;; [unrolled: 1-line block ×3, first 2 shown]
	v_add_f64 v[32:33], v[14:15], -v[0:1]
	v_add_f64 v[34:35], v[24:25], -v[2:3]
	;; [unrolled: 1-line block ×6, first 2 shown]
	v_add_f64 v[36:37], v[22:23], v[18:19]
	v_add_f64 v[38:39], v[16:17], v[12:13]
	v_add_f64 v[44:45], v[22:23], -v[18:19]
	v_add_f64 v[46:47], v[16:17], -v[12:13]
	;; [unrolled: 1-line block ×6, first 2 shown]
	v_add_f64 v[20:21], v[26:27], v[20:21]
	v_add_f64 v[26:27], v[28:29], v[30:31]
	v_mul_f64 v[2:3], v[2:3], s[14:15]
	v_mul_f64 v[0:1], v[0:1], s[14:15]
	;; [unrolled: 1-line block ×4, first 2 shown]
	v_add_f64 v[6:7], v[36:37], v[6:7]
	v_add_f64 v[8:9], v[38:39], v[8:9]
	v_mul_f64 v[36:37], v[44:45], s[16:17]
	v_mul_f64 v[38:39], v[46:47], s[16:17]
	;; [unrolled: 1-line block ×4, first 2 shown]
	v_add_f64 v[96:97], v[100:101], v[20:21]
	v_add_f64 v[98:99], v[102:103], v[26:27]
	v_fma_f64 v[24:25], v[24:25], s[4:5], v[2:3]
	v_fma_f64 v[14:15], v[14:15], s[4:5], v[0:1]
	v_fma_f64 v[28:29], v[32:33], s[20:21], -v[28:29]
	v_fma_f64 v[30:31], v[34:35], s[20:21], -v[30:31]
	;; [unrolled: 1-line block ×4, first 2 shown]
	v_fma_f64 v[32:33], v[22:23], s[24:25], v[36:37]
	v_fma_f64 v[34:35], v[16:17], s[24:25], v[38:39]
	v_fma_f64 v[18:19], v[18:19], s[12:13], -v[36:37]
	v_fma_f64 v[12:13], v[12:13], s[12:13], -v[38:39]
	;; [unrolled: 1-line block ×4, first 2 shown]
	v_fma_f64 v[20:21], v[20:21], s[18:19], v[96:97]
	v_fma_f64 v[26:27], v[26:27], s[18:19], v[98:99]
	;; [unrolled: 1-line block ×4, first 2 shown]
	v_add_f64 v[14:15], v[14:15], v[20:21]
	v_add_f64 v[24:25], v[24:25], v[26:27]
	;; [unrolled: 1-line block ×6, first 2 shown]
	v_fma_f64 v[20:21], v[6:7], s[28:29], v[32:33]
	v_fma_f64 v[26:27], v[8:9], s[28:29], v[34:35]
	;; [unrolled: 1-line block ×4, first 2 shown]
	v_add_f64 v[16:17], v[68:69], v[172:173]
	v_add_f64 v[22:23], v[174:175], -v[70:71]
	v_add_f64 v[112:113], v[28:29], -v[12:13]
	v_add_f64 v[108:109], v[12:13], v[28:29]
	v_add_f64 v[12:13], v[66:67], v[92:93]
	;; [unrolled: 1-line block ×3, first 2 shown]
	v_add_f64 v[122:123], v[24:25], -v[20:21]
	v_add_f64 v[120:121], v[26:27], v[14:15]
	v_add_f64 v[118:119], v[2:3], -v[6:7]
	v_add_f64 v[116:117], v[8:9], v[0:1]
	;; [unrolled: 2-line block ×3, first 2 shown]
	v_add_f64 v[0:1], v[60:61], v[94:95]
	v_add_f64 v[2:3], v[62:63], v[4:5]
	;; [unrolled: 1-line block ×3, first 2 shown]
	v_add_f64 v[110:111], v[30:31], -v[18:19]
	v_add_f64 v[100:101], v[14:15], -v[26:27]
	v_add_f64 v[102:103], v[20:21], v[24:25]
	v_add_f64 v[10:11], v[64:65], -v[10:11]
	v_add_f64 v[14:15], v[66:67], -v[92:93]
	v_add_f64 v[18:19], v[70:71], v[174:175]
	v_add_f64 v[20:21], v[172:173], -v[68:69]
	v_add_f64 v[6:7], v[60:61], -v[94:95]
	;; [unrolled: 1-line block ×3, first 2 shown]
	v_add_f64 v[26:27], v[12:13], v[2:3]
	v_add_f64 v[24:25], v[8:9], v[0:1]
	v_add_f64 v[28:29], v[8:9], -v[0:1]
	v_add_f64 v[30:31], v[12:13], -v[2:3]
	;; [unrolled: 1-line block ×4, first 2 shown]
	v_add_f64 v[34:35], v[22:23], v[14:15]
	v_add_f64 v[2:3], v[2:3], -v[18:19]
	v_add_f64 v[12:13], v[18:19], -v[12:13]
	v_add_f64 v[32:33], v[20:21], v[10:11]
	v_add_f64 v[36:37], v[20:21], -v[10:11]
	v_add_f64 v[38:39], v[22:23], -v[14:15]
	;; [unrolled: 1-line block ×6, first 2 shown]
	v_add_f64 v[18:19], v[18:19], v[26:27]
	v_add_f64 v[16:17], v[16:17], v[24:25]
	v_mul_f64 v[0:1], v[0:1], s[14:15]
	v_add_f64 v[26:27], v[34:35], v[4:5]
	v_mul_f64 v[2:3], v[2:3], s[14:15]
	v_mul_f64 v[4:5], v[8:9], s[4:5]
	v_add_f64 v[24:25], v[32:33], v[6:7]
	v_mul_f64 v[32:33], v[36:37], s[16:17]
	v_mul_f64 v[34:35], v[38:39], s[16:17]
	;; [unrolled: 1-line block ×5, first 2 shown]
	v_add_f64 v[94:95], v[126:127], v[18:19]
	v_add_f64 v[92:93], v[124:125], v[16:17]
	v_fma_f64 v[8:9], v[8:9], s[4:5], v[0:1]
	v_fma_f64 v[12:13], v[12:13], s[4:5], v[2:3]
	v_fma_f64 v[4:5], v[28:29], s[20:21], -v[4:5]
	v_fma_f64 v[28:29], v[28:29], s[22:23], -v[0:1]
	v_fma_f64 v[46:47], v[20:21], s[24:25], v[32:33]
	v_fma_f64 v[48:49], v[22:23], s[24:25], v[34:35]
	v_fma_f64 v[10:11], v[10:11], s[12:13], -v[32:33]
	v_fma_f64 v[14:15], v[14:15], s[12:13], -v[34:35]
	;; [unrolled: 1-line block ×4, first 2 shown]
	v_fma_f64 v[44:45], v[18:19], s[18:19], v[94:95]
	v_fma_f64 v[16:17], v[16:17], s[18:19], v[92:93]
	v_fma_f64 v[18:19], v[30:31], s[20:21], -v[6:7]
	v_fma_f64 v[30:31], v[30:31], s[22:23], -v[2:3]
	v_fma_f64 v[22:23], v[24:25], s[28:29], v[10:11]
	v_fma_f64 v[10:11], v[26:27], s[28:29], v[14:15]
	;; [unrolled: 1-line block ×4, first 2 shown]
	v_add_f64 v[6:7], v[12:13], v[44:45]
	v_add_f64 v[0:1], v[8:9], v[16:17]
	v_fma_f64 v[12:13], v[24:25], s[28:29], v[46:47]
	v_fma_f64 v[8:9], v[26:27], s[28:29], v[48:49]
	v_add_f64 v[2:3], v[4:5], v[16:17]
	v_add_f64 v[18:19], v[18:19], v[44:45]
	;; [unrolled: 1-line block ×5, first 2 shown]
	v_add_f64 v[24:25], v[0:1], -v[8:9]
	buffer_store_dword v24, off, s[36:39], 0 offset:4 ; 4-byte Folded Spill
	buffer_store_dword v25, off, s[36:39], 0 offset:8 ; 4-byte Folded Spill
	;; [unrolled: 1-line block ×4, first 2 shown]
	v_cndmask_b32_e64 v24, 0, 0x13b, s1
	v_add_f64 v[172:173], v[10:11], v[2:3]
	v_add_f64 v[174:175], v[18:19], -v[22:23]
	v_add_f64 v[176:177], v[4:5], -v[14:15]
	v_add_f64 v[178:179], v[20:21], v[16:17]
	v_add_lshl_u32 v24, v167, v24, 4
	s_waitcnt_vscnt null, 0x0
	s_barrier
	buffer_gl0_inv
	buffer_store_dword v202, off, s[36:39], 0 ; 4-byte Folded Spill
	ds_write_b128 v24, v[40:43]
	ds_write_b128 v24, v[168:171] offset:720
	ds_write_b128 v24, v[180:183] offset:1440
	;; [unrolled: 1-line block ×5, first 2 shown]
	buffer_store_dword v24, off, s[36:39], 0 offset:428 ; 4-byte Folded Spill
	ds_write_b128 v24, v[198:201] offset:4320
	v_mov_b32_e32 v24, 0x13b
	v_mul_u32_u24_sdwa v25, v163, v24 dst_sel:DWORD dst_unused:UNUSED_PAD src0_sel:WORD_0 src1_sel:DWORD
	v_mul_u32_u24_sdwa v24, v166, v24 dst_sel:DWORD dst_unused:UNUSED_PAD src0_sel:WORD_0 src1_sel:DWORD
	v_add_lshl_u32 v25, v25, v165, 4
	v_add_lshl_u32 v159, v24, v162, 4
	ds_write_b128 v25, v[128:131]
	ds_write_b128 v25, v[132:135] offset:720
	ds_write_b128 v25, v[136:139] offset:1440
	ds_write_b128 v25, v[140:143] offset:2160
	ds_write_b128 v25, v[144:147] offset:2880
	ds_write_b128 v25, v[148:151] offset:3600
	buffer_store_dword v25, off, s[36:39], 0 offset:1304 ; 4-byte Folded Spill
	ds_write_b128 v25, v[152:155] offset:4320
	ds_write_b128 v159, v[96:99]
	ds_write_b128 v159, v[120:123] offset:720
	ds_write_b128 v159, v[116:119] offset:1440
	;; [unrolled: 1-line block ×6, first 2 shown]
	s_and_saveexec_b32 s1, s0
	s_cbranch_execz .LBB0_15
; %bb.14:
	v_add_f64 v[26:27], v[6:7], -v[12:13]
	v_add_f64 v[24:25], v[8:9], v[0:1]
	v_add_f64 v[18:19], v[22:23], v[18:19]
	v_add_f64 v[22:23], v[16:17], -v[20:21]
	v_add_f64 v[20:21], v[14:15], v[4:5]
	v_add_f64 v[16:17], v[2:3], -v[10:11]
	v_lshlrev_b32_e32 v0, 4, v161
	ds_write_b128 v0, v[92:95] offset:20160
	ds_write_b128 v0, v[172:175] offset:23040
	;; [unrolled: 1-line block ×6, first 2 shown]
	s_clause 0x3
	buffer_load_dword v1, off, s[36:39], 0 offset:4
	buffer_load_dword v2, off, s[36:39], 0 offset:8
	;; [unrolled: 1-line block ×4, first 2 shown]
	s_waitcnt vmcnt(0)
	ds_write_b128 v0, v[1:4] offset:24480
.LBB0_15:
	s_or_b32 exec_lo, exec_lo, s1
	s_waitcnt lgkmcnt(0)
	s_waitcnt_vscnt null, 0x0
	s_barrier
	buffer_gl0_inv
	ds_read_b128 v[204:207], v156
	ds_read_b128 v[28:31], v156 offset:5040
	ds_read_b128 v[32:35], v156 offset:10080
	;; [unrolled: 1-line block ×24, first 2 shown]
	buffer_load_dword v48, off, s[36:39], 0 ; 4-byte Folded Reload
	s_mov_b32 s14, 0x134454ff
	s_mov_b32 s15, 0x3fee6f0e
	;; [unrolled: 1-line block ×8, first 2 shown]
	s_waitcnt vmcnt(0)
	v_lshlrev_b32_e32 v48, 6, v48
	v_add_co_u32 v50, s1, s2, v48
	v_add_co_ci_u32_e64 v51, null, s3, 0, s1
	v_add_co_u32 v48, s1, 0x1380, v50
	v_add_co_ci_u32_e64 v49, s1, 0, v51, s1
	v_add_co_u32 v50, s1, 0x1000, v50
	v_add_co_ci_u32_e64 v51, s1, 0, v51, s1
	s_clause 0x3
	global_load_dwordx4 v[124:127], v[50:51], off offset:896
	global_load_dwordx4 v[108:111], v[48:49], off offset:48
	;; [unrolled: 1-line block ×4, first 2 shown]
	s_waitcnt vmcnt(3) lgkmcnt(23)
	v_mul_f64 v[48:49], v[30:31], v[126:127]
	v_fma_f64 v[198:199], v[28:29], v[124:125], -v[48:49]
	v_mul_f64 v[28:29], v[28:29], v[126:127]
	v_fma_f64 v[210:211], v[30:31], v[124:125], v[28:29]
	s_waitcnt vmcnt(0) lgkmcnt(22)
	v_mul_f64 v[28:29], v[34:35], v[118:119]
	v_fma_f64 v[202:203], v[32:33], v[116:117], -v[28:29]
	v_mul_f64 v[28:29], v[32:33], v[118:119]
	v_fma_f64 v[212:213], v[34:35], v[116:117], v[28:29]
	s_waitcnt lgkmcnt(21)
	v_mul_f64 v[28:29], v[38:39], v[114:115]
	v_fma_f64 v[224:225], v[36:37], v[112:113], -v[28:29]
	v_mul_f64 v[28:29], v[36:37], v[114:115]
	v_fma_f64 v[214:215], v[38:39], v[112:113], v[28:29]
	s_waitcnt lgkmcnt(20)
	v_mul_f64 v[28:29], v[42:43], v[110:111]
	v_fma_f64 v[228:229], v[40:41], v[108:109], -v[28:29]
	v_mul_f64 v[28:29], v[40:41], v[110:111]
	v_fma_f64 v[220:221], v[42:43], v[108:109], v[28:29]
	v_lshlrev_b32_e32 v28, 6, v160
	v_add_co_u32 v30, s1, s2, v28
	v_add_co_ci_u32_e64 v31, null, s3, 0, s1
	v_add_co_u32 v28, s1, 0x1380, v30
	v_add_co_ci_u32_e64 v29, s1, 0, v31, s1
	v_add_co_u32 v30, s1, 0x1000, v30
	v_add_co_ci_u32_e64 v31, s1, 0, v31, s1
	s_clause 0x3
	global_load_dwordx4 v[160:163], v[30:31], off offset:896
	global_load_dwordx4 v[148:151], v[28:29], off offset:48
	global_load_dwordx4 v[152:155], v[28:29], off offset:32
	global_load_dwordx4 v[96:99], v[28:29], off offset:16
	s_waitcnt vmcnt(3) lgkmcnt(18)
	v_mul_f64 v[28:29], v[46:47], v[162:163]
	v_fma_f64 v[222:223], v[44:45], v[160:161], -v[28:29]
	v_mul_f64 v[28:29], v[44:45], v[162:163]
	v_fma_f64 v[50:51], v[46:47], v[160:161], v[28:29]
	s_waitcnt vmcnt(0) lgkmcnt(17)
	v_mul_f64 v[28:29], v[102:103], v[98:99]
	v_fma_f64 v[226:227], v[100:101], v[96:97], -v[28:29]
	v_mul_f64 v[28:29], v[100:101], v[98:99]
	v_fma_f64 v[230:231], v[102:103], v[96:97], v[28:29]
	s_waitcnt lgkmcnt(16)
	v_mul_f64 v[28:29], v[134:135], v[154:155]
	v_fma_f64 v[236:237], v[132:133], v[152:153], -v[28:29]
	v_mul_f64 v[28:29], v[132:133], v[154:155]
	v_fma_f64 v[232:233], v[134:135], v[152:153], v[28:29]
	s_waitcnt lgkmcnt(15)
	v_mul_f64 v[28:29], v[138:139], v[150:151]
	v_fma_f64 v[240:241], v[136:137], v[148:149], -v[28:29]
	v_mul_f64 v[28:29], v[136:137], v[150:151]
	v_fma_f64 v[234:235], v[138:139], v[148:149], v[28:29]
	v_lshlrev_b32_e32 v28, 6, v164
	v_add_co_u32 v30, s1, s2, v28
	v_add_co_ci_u32_e64 v31, null, s3, 0, s1
	v_add_co_u32 v28, s1, 0x1380, v30
	v_add_co_ci_u32_e64 v29, s1, 0, v31, s1
	v_add_co_u32 v30, s1, 0x1000, v30
	v_add_co_ci_u32_e64 v31, s1, 0, v31, s1
	s_clause 0x3
	global_load_dwordx4 v[168:171], v[30:31], off offset:896
	global_load_dwordx4 v[30:33], v[28:29], off offset:48
	;; [unrolled: 1-line block ×4, first 2 shown]
	s_waitcnt vmcnt(3) lgkmcnt(13)
	v_mul_f64 v[28:29], v[130:131], v[170:171]
	v_fma_f64 v[238:239], v[128:129], v[168:169], -v[28:29]
	v_mul_f64 v[28:29], v[128:129], v[170:171]
	v_fma_f64 v[38:39], v[130:131], v[168:169], v[28:29]
	s_waitcnt vmcnt(0) lgkmcnt(12)
	v_mul_f64 v[28:29], v[26:27], v[166:167]
	v_fma_f64 v[242:243], v[24:25], v[164:165], -v[28:29]
	v_mul_f64 v[24:25], v[24:25], v[166:167]
	v_fma_f64 v[246:247], v[26:27], v[164:165], v[24:25]
	s_waitcnt lgkmcnt(11)
	v_mul_f64 v[24:25], v[122:123], v[102:103]
	v_fma_f64 v[42:43], v[120:121], v[100:101], -v[24:25]
	v_mul_f64 v[24:25], v[120:121], v[102:103]
	v_fma_f64 v[248:249], v[122:123], v[100:101], v[24:25]
	s_waitcnt lgkmcnt(10)
	v_mul_f64 v[24:25], v[94:95], v[32:33]
	v_fma_f64 v[252:253], v[92:93], v[30:31], -v[24:25]
	v_mul_f64 v[24:25], v[92:93], v[32:33]
	buffer_store_dword v30, off, s[36:39], 0 offset:1308 ; 4-byte Folded Spill
	buffer_store_dword v31, off, s[36:39], 0 offset:1312 ; 4-byte Folded Spill
	;; [unrolled: 1-line block ×4, first 2 shown]
	v_fma_f64 v[250:251], v[94:95], v[30:31], v[24:25]
	v_lshlrev_b32_e32 v24, 6, v197
	v_add_co_u32 v26, s1, s2, v24
	v_add_co_ci_u32_e64 v27, null, s3, 0, s1
	v_add_co_u32 v24, s1, 0x1380, v26
	v_add_co_ci_u32_e64 v25, s1, 0, v27, s1
	v_add_co_u32 v26, s1, 0x1000, v26
	v_add_co_ci_u32_e64 v27, s1, 0, v27, s1
	s_clause 0x3
	global_load_dwordx4 v[144:147], v[26:27], off offset:896
	global_load_dwordx4 v[92:95], v[24:25], off offset:48
	;; [unrolled: 1-line block ×4, first 2 shown]
	s_waitcnt vmcnt(3) lgkmcnt(8)
	v_mul_f64 v[24:25], v[106:107], v[146:147]
	v_fma_f64 v[30:31], v[104:105], v[144:145], -v[24:25]
	v_mul_f64 v[24:25], v[104:105], v[146:147]
	v_fma_f64 v[28:29], v[106:107], v[144:145], v[24:25]
	s_waitcnt vmcnt(0) lgkmcnt(7)
	v_mul_f64 v[24:25], v[22:23], v[142:143]
	v_fma_f64 v[32:33], v[20:21], v[140:141], -v[24:25]
	v_mul_f64 v[20:21], v[20:21], v[142:143]
	v_fma_f64 v[20:21], v[22:23], v[140:141], v[20:21]
	s_waitcnt lgkmcnt(6)
	v_mul_f64 v[22:23], v[18:19], v[122:123]
	v_fma_f64 v[34:35], v[16:17], v[120:121], -v[22:23]
	v_mul_f64 v[16:17], v[16:17], v[122:123]
	v_fma_f64 v[16:17], v[18:19], v[120:121], v[16:17]
	s_waitcnt lgkmcnt(5)
	v_mul_f64 v[18:19], v[14:15], v[94:95]
	v_fma_f64 v[18:19], v[12:13], v[92:93], -v[18:19]
	v_mul_f64 v[12:13], v[12:13], v[94:95]
	v_fma_f64 v[12:13], v[14:15], v[92:93], v[12:13]
	v_lshlrev_b32_e32 v14, 6, v196
	v_add_co_u32 v22, s1, s2, v14
	v_add_co_ci_u32_e64 v23, null, s3, 0, s1
	s_mov_b32 s2, 0x372fe950
	v_add_co_u32 v14, s1, 0x1380, v22
	v_add_co_ci_u32_e64 v15, s1, 0, v23, s1
	v_add_co_u32 v22, s1, 0x1000, v22
	v_add_co_ci_u32_e64 v23, s1, 0, v23, s1
	s_clause 0x3
	global_load_dwordx4 v[132:135], v[22:23], off offset:896
	global_load_dwordx4 v[104:107], v[14:15], off offset:48
	;; [unrolled: 1-line block ×4, first 2 shown]
	s_mov_b32 s3, 0x3fd3c6ef
	s_waitcnt vmcnt(3) lgkmcnt(3)
	v_mul_f64 v[14:15], v[10:11], v[134:135]
	v_fma_f64 v[40:41], v[8:9], v[132:133], -v[14:15]
	v_mul_f64 v[8:9], v[8:9], v[134:135]
	v_add_f64 v[14:15], v[34:35], -v[18:19]
	v_fma_f64 v[22:23], v[10:11], v[132:133], v[8:9]
	s_waitcnt vmcnt(0) lgkmcnt(2)
	v_mul_f64 v[8:9], v[6:7], v[138:139]
	v_add_f64 v[10:11], v[228:229], -v[224:225]
	v_fma_f64 v[44:45], v[4:5], v[136:137], -v[8:9]
	v_mul_f64 v[4:5], v[4:5], v[138:139]
	v_add_f64 v[8:9], v[198:199], -v[202:203]
	v_fma_f64 v[24:25], v[6:7], v[136:137], v[4:5]
	s_waitcnt lgkmcnt(1)
	v_mul_f64 v[4:5], v[2:3], v[130:131]
	v_add_f64 v[6:7], v[212:213], -v[214:215]
	v_add_f64 v[8:9], v[8:9], v[10:11]
	v_add_f64 v[10:11], v[224:225], -v[228:229]
	v_fma_f64 v[46:47], v[0:1], v[128:129], -v[4:5]
	v_mul_f64 v[0:1], v[0:1], v[130:131]
	v_fma_f64 v[26:27], v[2:3], v[128:129], v[0:1]
	s_waitcnt lgkmcnt(0)
	v_mul_f64 v[0:1], v[194:195], v[106:107]
	v_add_f64 v[2:3], v[210:211], -v[220:221]
	v_fma_f64 v[48:49], v[192:193], v[104:105], -v[0:1]
	v_mul_f64 v[0:1], v[192:193], v[106:107]
	v_fma_f64 v[36:37], v[194:195], v[104:105], v[0:1]
	v_add_f64 v[0:1], v[204:205], v[198:199]
	v_add_f64 v[0:1], v[0:1], v[202:203]
	;; [unrolled: 1-line block ×5, first 2 shown]
	v_fma_f64 v[0:1], v[0:1], -0.5, v[204:205]
	v_fma_f64 v[4:5], v[2:3], s[14:15], v[0:1]
	v_fma_f64 v[0:1], v[2:3], s[12:13], v[0:1]
	v_fma_f64 v[4:5], v[6:7], s[4:5], v[4:5]
	v_fma_f64 v[0:1], v[6:7], s[16:17], v[0:1]
	v_fma_f64 v[196:197], v[8:9], s[2:3], v[4:5]
	v_fma_f64 v[200:201], v[8:9], s[2:3], v[0:1]
	v_add_f64 v[0:1], v[198:199], v[228:229]
	v_add_f64 v[8:9], v[202:203], -v[198:199]
	v_fma_f64 v[0:1], v[0:1], -0.5, v[204:205]
	v_add_f64 v[8:9], v[8:9], v[10:11]
	v_add_f64 v[10:11], v[220:221], -v[214:215]
	v_fma_f64 v[4:5], v[6:7], s[12:13], v[0:1]
	v_fma_f64 v[0:1], v[6:7], s[14:15], v[0:1]
	v_add_f64 v[6:7], v[202:203], -v[224:225]
	v_fma_f64 v[4:5], v[2:3], s[4:5], v[4:5]
	v_fma_f64 v[0:1], v[2:3], s[16:17], v[0:1]
	v_add_f64 v[2:3], v[198:199], -v[228:229]
	v_fma_f64 v[204:205], v[8:9], s[2:3], v[4:5]
	v_fma_f64 v[208:209], v[8:9], s[2:3], v[0:1]
	v_add_f64 v[0:1], v[206:207], v[210:211]
	v_add_f64 v[8:9], v[210:211], -v[212:213]
	v_add_f64 v[0:1], v[0:1], v[212:213]
	v_add_f64 v[8:9], v[8:9], v[10:11]
	v_add_f64 v[10:11], v[214:215], -v[220:221]
	v_add_f64 v[0:1], v[0:1], v[214:215]
	v_add_f64 v[194:195], v[0:1], v[220:221]
	v_add_f64 v[0:1], v[212:213], v[214:215]
	v_fma_f64 v[0:1], v[0:1], -0.5, v[206:207]
	v_fma_f64 v[4:5], v[2:3], s[12:13], v[0:1]
	v_fma_f64 v[0:1], v[2:3], s[14:15], v[0:1]
	v_fma_f64 v[4:5], v[6:7], s[16:17], v[4:5]
	v_fma_f64 v[0:1], v[6:7], s[4:5], v[0:1]
	v_fma_f64 v[198:199], v[8:9], s[2:3], v[4:5]
	v_fma_f64 v[202:203], v[8:9], s[2:3], v[0:1]
	v_add_f64 v[0:1], v[210:211], v[220:221]
	v_add_f64 v[8:9], v[212:213], -v[210:211]
	v_fma_f64 v[0:1], v[0:1], -0.5, v[206:207]
	v_add_f64 v[8:9], v[8:9], v[10:11]
	v_add_f64 v[10:11], v[240:241], -v[236:237]
	v_fma_f64 v[4:5], v[6:7], s[14:15], v[0:1]
	v_fma_f64 v[0:1], v[6:7], s[12:13], v[0:1]
	v_add_f64 v[6:7], v[230:231], -v[232:233]
	v_fma_f64 v[4:5], v[2:3], s[16:17], v[4:5]
	v_fma_f64 v[0:1], v[2:3], s[4:5], v[0:1]
	v_add_f64 v[2:3], v[50:51], -v[234:235]
	v_fma_f64 v[206:207], v[8:9], s[2:3], v[4:5]
	v_fma_f64 v[210:211], v[8:9], s[2:3], v[0:1]
	v_add_f64 v[0:1], v[216:217], v[222:223]
	v_add_f64 v[8:9], v[222:223], -v[226:227]
	v_add_f64 v[0:1], v[0:1], v[226:227]
	v_add_f64 v[8:9], v[8:9], v[10:11]
	v_add_f64 v[10:11], v[236:237], -v[240:241]
	v_add_f64 v[0:1], v[0:1], v[236:237]
	v_add_f64 v[212:213], v[0:1], v[240:241]
	v_add_f64 v[0:1], v[226:227], v[236:237]
	;; [unrolled: 28-line block ×5, first 2 shown]
	v_fma_f64 v[0:1], v[0:1], -0.5, v[190:191]
	v_fma_f64 v[4:5], v[2:3], s[12:13], v[0:1]
	v_fma_f64 v[0:1], v[2:3], s[14:15], v[0:1]
	;; [unrolled: 1-line block ×6, first 2 shown]
	v_add_f64 v[0:1], v[38:39], v[250:251]
	v_add_f64 v[8:9], v[246:247], -v[38:39]
	v_add_f64 v[38:39], v[36:37], -v[26:27]
	v_fma_f64 v[0:1], v[0:1], -0.5, v[190:191]
	v_add_f64 v[8:9], v[8:9], v[10:11]
	v_add_f64 v[10:11], v[18:19], -v[34:35]
	v_fma_f64 v[4:5], v[6:7], s[14:15], v[0:1]
	v_fma_f64 v[0:1], v[6:7], s[12:13], v[0:1]
	v_add_f64 v[6:7], v[20:21], -v[16:17]
	v_fma_f64 v[4:5], v[2:3], s[16:17], v[4:5]
	v_fma_f64 v[0:1], v[2:3], s[4:5], v[0:1]
	;; [unrolled: 1-line block ×4, first 2 shown]
	v_add_f64 v[0:1], v[180:181], v[30:31]
	v_add_f64 v[4:5], v[28:29], -v[12:13]
	v_add_f64 v[8:9], v[30:31], -v[32:33]
	v_add_f64 v[0:1], v[0:1], v[32:33]
	v_add_f64 v[8:9], v[8:9], v[10:11]
	v_add_f64 v[10:11], v[32:33], -v[30:31]
	v_add_f64 v[0:1], v[0:1], v[34:35]
	v_add_f64 v[10:11], v[10:11], v[14:15]
	;; [unrolled: 3-line block ×3, first 2 shown]
	v_fma_f64 v[2:3], v[0:1], -0.5, v[180:181]
	v_fma_f64 v[0:1], v[4:5], s[14:15], v[2:3]
	v_fma_f64 v[2:3], v[4:5], s[12:13], v[2:3]
	;; [unrolled: 1-line block ×6, first 2 shown]
	v_add_f64 v[2:3], v[30:31], v[18:19]
	v_add_f64 v[18:19], v[32:33], -v[34:35]
	v_add_f64 v[30:31], v[12:13], -v[16:17]
	;; [unrolled: 1-line block ×4, first 2 shown]
	v_fma_f64 v[2:3], v[2:3], -0.5, v[180:181]
	v_add_f64 v[34:35], v[34:35], v[38:39]
	v_fma_f64 v[8:9], v[6:7], s[12:13], v[2:3]
	v_fma_f64 v[2:3], v[6:7], s[14:15], v[2:3]
	;; [unrolled: 1-line block ×6, first 2 shown]
	v_add_f64 v[2:3], v[182:183], v[28:29]
	v_add_f64 v[10:11], v[28:29], -v[20:21]
	v_add_f64 v[2:3], v[2:3], v[20:21]
	v_add_f64 v[10:11], v[10:11], v[30:31]
	v_add_f64 v[30:31], v[48:49], -v[46:47]
	v_add_f64 v[2:3], v[2:3], v[16:17]
	v_add_f64 v[250:251], v[2:3], v[12:13]
	;; [unrolled: 1-line block ×3, first 2 shown]
	v_add_f64 v[20:21], v[20:21], -v[28:29]
	v_fma_f64 v[6:7], v[2:3], -0.5, v[182:183]
	v_fma_f64 v[2:3], v[14:15], s[12:13], v[6:7]
	v_fma_f64 v[6:7], v[14:15], s[14:15], v[6:7]
	;; [unrolled: 1-line block ×6, first 2 shown]
	v_add_f64 v[6:7], v[28:29], v[12:13]
	v_add_f64 v[12:13], v[16:17], -v[12:13]
	v_add_f64 v[28:29], v[24:25], -v[26:27]
	v_fma_f64 v[6:7], v[6:7], -0.5, v[182:183]
	v_add_f64 v[12:13], v[20:21], v[12:13]
	v_add_f64 v[20:21], v[40:41], -v[44:45]
	v_fma_f64 v[10:11], v[18:19], s[14:15], v[6:7]
	v_fma_f64 v[6:7], v[18:19], s[12:13], v[6:7]
	v_add_f64 v[18:19], v[22:23], -v[36:37]
	v_add_f64 v[20:21], v[20:21], v[30:31]
	v_add_f64 v[30:31], v[44:45], -v[40:41]
	v_fma_f64 v[10:11], v[14:15], s[16:17], v[10:11]
	v_fma_f64 v[6:7], v[14:15], s[4:5], v[6:7]
	v_add_f64 v[14:15], v[44:45], v[46:47]
	v_add_f64 v[30:31], v[30:31], v[32:33]
	v_fma_f64 v[10:11], v[12:13], s[2:3], v[10:11]
	v_fma_f64 v[6:7], v[12:13], s[2:3], v[6:7]
	v_fma_f64 v[14:15], v[14:15], -0.5, v[184:185]
	v_add_f64 v[12:13], v[184:185], v[40:41]
	v_fma_f64 v[16:17], v[18:19], s[14:15], v[14:15]
	v_fma_f64 v[14:15], v[18:19], s[12:13], v[14:15]
	v_add_f64 v[12:13], v[12:13], v[44:45]
	v_fma_f64 v[16:17], v[28:29], s[4:5], v[16:17]
	v_fma_f64 v[14:15], v[28:29], s[16:17], v[14:15]
	;; [unrolled: 3-line block ×3, first 2 shown]
	v_add_f64 v[14:15], v[40:41], v[48:49]
	v_add_f64 v[12:13], v[12:13], v[48:49]
	v_fma_f64 v[14:15], v[14:15], -0.5, v[184:185]
	v_fma_f64 v[20:21], v[28:29], s[12:13], v[14:15]
	v_fma_f64 v[14:15], v[28:29], s[14:15], v[14:15]
	v_add_f64 v[28:29], v[40:41], -v[48:49]
	v_fma_f64 v[20:21], v[18:19], s[4:5], v[20:21]
	v_fma_f64 v[14:15], v[18:19], s[16:17], v[14:15]
	v_add_f64 v[18:19], v[24:25], v[26:27]
	v_fma_f64 v[20:21], v[30:31], s[2:3], v[20:21]
	v_fma_f64 v[184:185], v[30:31], s[2:3], v[14:15]
	v_fma_f64 v[32:33], v[18:19], -0.5, v[186:187]
	v_add_f64 v[30:31], v[44:45], -v[46:47]
	v_add_f64 v[14:15], v[186:187], v[22:23]
	v_fma_f64 v[18:19], v[28:29], s[12:13], v[32:33]
	v_fma_f64 v[32:33], v[28:29], s[14:15], v[32:33]
	v_add_f64 v[14:15], v[14:15], v[24:25]
	v_fma_f64 v[18:19], v[30:31], s[16:17], v[18:19]
	v_fma_f64 v[32:33], v[30:31], s[4:5], v[32:33]
	;; [unrolled: 3-line block ×3, first 2 shown]
	v_add_f64 v[32:33], v[22:23], v[36:37]
	v_add_f64 v[22:23], v[24:25], -v[22:23]
	v_add_f64 v[24:25], v[26:27], -v[36:37]
	v_add_f64 v[14:15], v[14:15], v[36:37]
	v_fma_f64 v[32:33], v[32:33], -0.5, v[186:187]
	v_add_f64 v[24:25], v[22:23], v[24:25]
	v_fma_f64 v[34:35], v[30:31], s[14:15], v[32:33]
	v_fma_f64 v[26:27], v[30:31], s[12:13], v[32:33]
	;; [unrolled: 1-line block ×6, first 2 shown]
	ds_write_b128 v156, v[192:195]
	ds_write_b128 v156, v[196:199] offset:5040
	ds_write_b128 v156, v[204:207] offset:10080
	;; [unrolled: 1-line block ×24, first 2 shown]
	v_add_co_u32 v0, s1, 0x6270, v157
	v_add_co_ci_u32_e64 v1, s1, 0, v158, s1
	v_add_co_u32 v6, s1, 0x6000, v157
	v_add_co_ci_u32_e64 v7, s1, 0, v158, s1
	s_waitcnt lgkmcnt(0)
	s_waitcnt_vscnt null, 0x0
	s_barrier
	buffer_gl0_inv
	ds_read_b128 v[2:5], v156
	buffer_store_dword v6, off, s[36:39], 0 offset:1428 ; 4-byte Folded Spill
	buffer_store_dword v7, off, s[36:39], 0 offset:1432 ; 4-byte Folded Spill
	v_add_co_u32 v14, s1, 0x8000, v157
	v_add_co_ci_u32_e64 v15, s1, 0, v158, s1
	global_load_dwordx4 v[6:9], v[6:7], off offset:624
	s_waitcnt vmcnt(0) lgkmcnt(0)
	v_mul_f64 v[10:11], v[4:5], v[8:9]
	v_fma_f64 v[10:11], v[2:3], v[6:7], -v[10:11]
	v_mul_f64 v[2:3], v[2:3], v[8:9]
	v_fma_f64 v[12:13], v[4:5], v[6:7], v[2:3]
	global_load_dwordx4 v[6:9], v[14:15], off offset:832
	ds_read_b128 v[2:5], v156 offset:8400
	ds_write_b128 v156, v[10:13]
	s_waitcnt vmcnt(0) lgkmcnt(1)
	v_mul_f64 v[10:11], v[4:5], v[8:9]
	v_fma_f64 v[10:11], v[2:3], v[6:7], -v[10:11]
	v_mul_f64 v[2:3], v[2:3], v[8:9]
	v_fma_f64 v[12:13], v[4:5], v[6:7], v[2:3]
	v_add_co_u32 v6, s1, 0xa000, v157
	v_add_co_ci_u32_e64 v7, s1, 0, v158, s1
	ds_read_b128 v[2:5], v156 offset:16800
	global_load_dwordx4 v[6:9], v[6:7], off offset:1040
	ds_write_b128 v156, v[10:13] offset:8400
	s_waitcnt vmcnt(0) lgkmcnt(1)
	v_mul_f64 v[10:11], v[4:5], v[8:9]
	v_fma_f64 v[10:11], v[2:3], v[6:7], -v[10:11]
	v_mul_f64 v[2:3], v[2:3], v[8:9]
	v_fma_f64 v[12:13], v[4:5], v[6:7], v[2:3]
	global_load_dwordx4 v[6:9], v[0:1], off offset:1008
	ds_read_b128 v[2:5], v156 offset:1008
	ds_write_b128 v156, v[10:13] offset:16800
	s_waitcnt vmcnt(0) lgkmcnt(1)
	v_mul_f64 v[10:11], v[4:5], v[8:9]
	v_fma_f64 v[10:11], v[2:3], v[6:7], -v[10:11]
	v_mul_f64 v[2:3], v[2:3], v[8:9]
	v_fma_f64 v[12:13], v[4:5], v[6:7], v[2:3]
	global_load_dwordx4 v[6:9], v[14:15], off offset:1840
	ds_read_b128 v[2:5], v156 offset:9408
	v_add_co_u32 v14, s1, 0xa800, v157
	v_add_co_ci_u32_e64 v15, s1, 0, v158, s1
	v_add_co_u32 v16, s1, 0x8800, v157
	v_add_co_ci_u32_e64 v17, s1, 0, v158, s1
	ds_write_b128 v156, v[10:13] offset:1008
	s_waitcnt vmcnt(0) lgkmcnt(1)
	v_mul_f64 v[10:11], v[4:5], v[8:9]
	v_fma_f64 v[10:11], v[2:3], v[6:7], -v[10:11]
	v_mul_f64 v[2:3], v[2:3], v[8:9]
	v_fma_f64 v[12:13], v[4:5], v[6:7], v[2:3]
	global_load_dwordx4 v[6:9], v[14:15], off
	ds_read_b128 v[2:5], v156 offset:17808
	ds_write_b128 v156, v[10:13] offset:9408
	s_waitcnt vmcnt(0) lgkmcnt(1)
	v_mul_f64 v[10:11], v[4:5], v[8:9]
	v_fma_f64 v[10:11], v[2:3], v[6:7], -v[10:11]
	v_mul_f64 v[2:3], v[2:3], v[8:9]
	v_fma_f64 v[12:13], v[4:5], v[6:7], v[2:3]
	global_load_dwordx4 v[6:9], v[0:1], off offset:2016
	ds_read_b128 v[2:5], v156 offset:2016
	ds_write_b128 v156, v[10:13] offset:17808
	s_waitcnt vmcnt(0) lgkmcnt(1)
	v_mul_f64 v[10:11], v[4:5], v[8:9]
	v_fma_f64 v[10:11], v[2:3], v[6:7], -v[10:11]
	v_mul_f64 v[2:3], v[2:3], v[8:9]
	v_fma_f64 v[12:13], v[4:5], v[6:7], v[2:3]
	global_load_dwordx4 v[6:9], v[16:17], off offset:800
	;; [unrolled: 8-line block ×3, first 2 shown]
	ds_read_b128 v[2:5], v156 offset:18816
	ds_write_b128 v156, v[10:13] offset:10416
	s_waitcnt vmcnt(0) lgkmcnt(1)
	v_mul_f64 v[10:11], v[4:5], v[8:9]
	v_fma_f64 v[10:11], v[2:3], v[6:7], -v[10:11]
	v_mul_f64 v[2:3], v[2:3], v[8:9]
	v_fma_f64 v[12:13], v[4:5], v[6:7], v[2:3]
	v_add_co_u32 v6, s1, 0x6800, v157
	v_add_co_ci_u32_e64 v7, s1, 0, v158, s1
	ds_read_b128 v[2:5], v156 offset:3024
	global_load_dwordx4 v[6:9], v[6:7], off offset:1600
	ds_write_b128 v156, v[10:13] offset:18816
	s_waitcnt vmcnt(0) lgkmcnt(1)
	v_mul_f64 v[10:11], v[4:5], v[8:9]
	v_fma_f64 v[10:11], v[2:3], v[6:7], -v[10:11]
	v_mul_f64 v[2:3], v[2:3], v[8:9]
	v_fma_f64 v[12:13], v[4:5], v[6:7], v[2:3]
	global_load_dwordx4 v[6:9], v[16:17], off offset:1808
	ds_read_b128 v[2:5], v156 offset:11424
	ds_write_b128 v156, v[10:13] offset:3024
	s_waitcnt vmcnt(0) lgkmcnt(1)
	v_mul_f64 v[10:11], v[4:5], v[8:9]
	v_fma_f64 v[10:11], v[2:3], v[6:7], -v[10:11]
	v_mul_f64 v[2:3], v[2:3], v[8:9]
	v_fma_f64 v[12:13], v[4:5], v[6:7], v[2:3]
	global_load_dwordx4 v[6:9], v[14:15], off offset:2016
	ds_read_b128 v[2:5], v156 offset:19824
	v_add_co_u32 v14, s1, 0x7000, v157
	v_add_co_ci_u32_e64 v15, s1, 0, v158, s1
	v_add_co_u32 v16, s1, 0x9000, v157
	v_add_co_ci_u32_e64 v17, s1, 0, v158, s1
	;; [unrolled: 2-line block ×3, first 2 shown]
	ds_write_b128 v156, v[10:13] offset:11424
	s_waitcnt vmcnt(0) lgkmcnt(1)
	v_mul_f64 v[10:11], v[4:5], v[8:9]
	v_fma_f64 v[10:11], v[2:3], v[6:7], -v[10:11]
	v_mul_f64 v[2:3], v[2:3], v[8:9]
	v_fma_f64 v[12:13], v[4:5], v[6:7], v[2:3]
	global_load_dwordx4 v[6:9], v[14:15], off offset:560
	ds_read_b128 v[2:5], v156 offset:4032
	ds_write_b128 v156, v[10:13] offset:19824
	s_waitcnt vmcnt(0) lgkmcnt(1)
	v_mul_f64 v[10:11], v[4:5], v[8:9]
	v_fma_f64 v[10:11], v[2:3], v[6:7], -v[10:11]
	v_mul_f64 v[2:3], v[2:3], v[8:9]
	v_fma_f64 v[12:13], v[4:5], v[6:7], v[2:3]
	global_load_dwordx4 v[6:9], v[16:17], off offset:768
	ds_read_b128 v[2:5], v156 offset:12432
	;; [unrolled: 8-line block ×4, first 2 shown]
	v_add_co_u32 v14, s1, 0x7800, v157
	v_add_co_ci_u32_e64 v15, s1, 0, v158, s1
	ds_write_b128 v156, v[10:13] offset:20832
	s_waitcnt vmcnt(0) lgkmcnt(1)
	v_mul_f64 v[10:11], v[4:5], v[8:9]
	v_fma_f64 v[10:11], v[2:3], v[6:7], -v[10:11]
	v_mul_f64 v[2:3], v[2:3], v[8:9]
	v_fma_f64 v[12:13], v[4:5], v[6:7], v[2:3]
	global_load_dwordx4 v[6:9], v[16:17], off offset:1776
	ds_read_b128 v[2:5], v156 offset:13440
	v_add_co_u32 v16, s1, 0x9800, v157
	v_add_co_ci_u32_e64 v17, s1, 0, v158, s1
	ds_write_b128 v156, v[10:13] offset:5040
	s_waitcnt vmcnt(0) lgkmcnt(1)
	v_mul_f64 v[10:11], v[4:5], v[8:9]
	v_fma_f64 v[10:11], v[2:3], v[6:7], -v[10:11]
	v_mul_f64 v[2:3], v[2:3], v[8:9]
	v_fma_f64 v[12:13], v[4:5], v[6:7], v[2:3]
	global_load_dwordx4 v[6:9], v[18:19], off offset:1984
	ds_read_b128 v[2:5], v156 offset:21840
	;; [unrolled: 10-line block ×3, first 2 shown]
	ds_write_b128 v156, v[10:13] offset:21840
	s_waitcnt vmcnt(0) lgkmcnt(1)
	v_mul_f64 v[10:11], v[4:5], v[8:9]
	v_fma_f64 v[10:11], v[2:3], v[6:7], -v[10:11]
	v_mul_f64 v[2:3], v[2:3], v[8:9]
	v_fma_f64 v[12:13], v[4:5], v[6:7], v[2:3]
	global_load_dwordx4 v[6:9], v[16:17], off offset:736
	ds_read_b128 v[2:5], v156 offset:14448
	ds_write_b128 v156, v[10:13] offset:6048
	s_waitcnt vmcnt(0) lgkmcnt(1)
	v_mul_f64 v[10:11], v[4:5], v[8:9]
	v_fma_f64 v[10:11], v[2:3], v[6:7], -v[10:11]
	v_mul_f64 v[2:3], v[2:3], v[8:9]
	v_fma_f64 v[12:13], v[4:5], v[6:7], v[2:3]
	global_load_dwordx4 v[6:9], v[18:19], off offset:944
	ds_read_b128 v[2:5], v156 offset:22848
	;; [unrolled: 8-line block ×5, first 2 shown]
	ds_write_b128 v156, v[10:13] offset:15456
	s_waitcnt vmcnt(0) lgkmcnt(1)
	v_mul_f64 v[10:11], v[4:5], v[8:9]
	v_fma_f64 v[10:11], v[2:3], v[6:7], -v[10:11]
	v_mul_f64 v[2:3], v[2:3], v[8:9]
	v_fma_f64 v[12:13], v[4:5], v[6:7], v[2:3]
	ds_write_b128 v156, v[10:13] offset:23856
	s_and_saveexec_b32 s2, vcc_lo
	s_cbranch_execz .LBB0_17
; %bb.16:
	v_add_co_u32 v6, s1, 0x1800, v0
	v_add_co_ci_u32_e64 v7, s1, 0, v1, s1
	ds_read_b128 v[2:5], v156 offset:8064
	global_load_dwordx4 v[6:9], v[6:7], off offset:1920
	s_waitcnt vmcnt(0) lgkmcnt(0)
	v_mul_f64 v[10:11], v[4:5], v[8:9]
	v_fma_f64 v[10:11], v[2:3], v[6:7], -v[10:11]
	v_mul_f64 v[2:3], v[2:3], v[8:9]
	v_fma_f64 v[12:13], v[4:5], v[6:7], v[2:3]
	v_add_co_u32 v6, s1, 0x4000, v0
	v_add_co_ci_u32_e64 v7, s1, 0, v1, s1
	ds_read_b128 v[2:5], v156 offset:16464
	v_add_co_u32 v0, s1, 0x6000, v0
	global_load_dwordx4 v[6:9], v[6:7], off offset:80
	v_add_co_ci_u32_e64 v1, s1, 0, v1, s1
	ds_write_b128 v156, v[10:13] offset:8064
	s_waitcnt vmcnt(0) lgkmcnt(1)
	v_mul_f64 v[10:11], v[4:5], v[8:9]
	v_fma_f64 v[10:11], v[2:3], v[6:7], -v[10:11]
	v_mul_f64 v[2:3], v[2:3], v[8:9]
	v_fma_f64 v[12:13], v[4:5], v[6:7], v[2:3]
	global_load_dwordx4 v[6:9], v[0:1], off offset:288
	ds_read_b128 v[2:5], v156 offset:24864
	ds_write_b128 v156, v[10:13] offset:16464
	s_waitcnt vmcnt(0) lgkmcnt(1)
	v_mul_f64 v[0:1], v[4:5], v[8:9]
	v_fma_f64 v[0:1], v[2:3], v[6:7], -v[0:1]
	v_mul_f64 v[2:3], v[2:3], v[8:9]
	v_fma_f64 v[2:3], v[4:5], v[6:7], v[2:3]
	ds_write_b128 v156, v[0:3] offset:24864
.LBB0_17:
	s_or_b32 exec_lo, exec_lo, s2
	s_waitcnt lgkmcnt(0)
	s_waitcnt_vscnt null, 0x0
	s_barrier
	buffer_gl0_inv
	ds_read_b128 v[16:19], v156
	ds_read_b128 v[200:203], v156 offset:1008
	ds_read_b128 v[196:199], v156 offset:8400
	;; [unrolled: 1-line block ×23, first 2 shown]
	s_and_saveexec_b32 s1, vcc_lo
	s_cbranch_execz .LBB0_19
; %bb.18:
	ds_read_b128 v[180:183], v156 offset:8064
	ds_read_b128 v[172:175], v156 offset:16464
	;; [unrolled: 1-line block ×3, first 2 shown]
.LBB0_19:
	s_or_b32 exec_lo, exec_lo, s1
	s_waitcnt lgkmcnt(19)
	v_add_f64 v[2:3], v[196:197], v[204:205]
	v_add_f64 v[0:1], v[16:17], v[196:197]
	;; [unrolled: 1-line block ×3, first 2 shown]
	s_mov_b32 s2, 0xe8584caa
	s_mov_b32 s3, 0xbfebb67a
	s_mov_b32 s5, 0x3febb67a
	s_mov_b32 s4, s2
	v_add_f64 v[36:37], v[196:197], -v[204:205]
	s_waitcnt lgkmcnt(18)
	v_add_f64 v[38:39], v[222:223], -v[230:231]
	s_waitcnt lgkmcnt(1)
	v_add_f64 v[46:47], v[188:189], v[192:193]
	v_add_f64 v[50:51], v[190:191], -v[194:195]
	v_add_f64 v[62:63], v[188:189], -v[192:193]
	;; [unrolled: 1-line block ×3, first 2 shown]
	s_waitcnt lgkmcnt(0)
	s_barrier
	buffer_gl0_inv
	v_fma_f64 v[2:3], v[2:3], -0.5, v[16:17]
	v_add_f64 v[16:17], v[198:199], -v[206:207]
	v_add_f64 v[0:1], v[0:1], v[204:205]
	v_fma_f64 v[46:47], v[46:47], -0.5, v[184:185]
	v_fma_f64 v[20:21], v[16:17], s[2:3], v[2:3]
	v_fma_f64 v[16:17], v[16:17], s[4:5], v[2:3]
	v_add_f64 v[2:3], v[18:19], v[198:199]
	v_fma_f64 v[18:19], v[22:23], -0.5, v[18:19]
	v_fma_f64 v[48:49], v[50:51], s[2:3], v[46:47]
	v_add_f64 v[2:3], v[2:3], v[206:207]
	v_fma_f64 v[22:23], v[36:37], s[4:5], v[18:19]
	v_fma_f64 v[18:19], v[36:37], s[2:3], v[18:19]
	v_add_f64 v[36:37], v[200:201], v[220:221]
	v_add_f64 v[196:197], v[36:37], v[228:229]
	;; [unrolled: 1-line block ×3, first 2 shown]
	v_fma_f64 v[36:37], v[36:37], -0.5, v[200:201]
	v_fma_f64 v[204:205], v[38:39], s[2:3], v[36:37]
	v_fma_f64 v[200:201], v[38:39], s[4:5], v[36:37]
	v_add_f64 v[36:37], v[202:203], v[222:223]
	v_add_f64 v[38:39], v[220:221], -v[228:229]
	v_add_f64 v[198:199], v[36:37], v[230:231]
	v_add_f64 v[36:37], v[222:223], v[230:231]
	v_fma_f64 v[36:37], v[36:37], -0.5, v[202:203]
	v_fma_f64 v[206:207], v[38:39], s[4:5], v[36:37]
	v_fma_f64 v[202:203], v[38:39], s[2:3], v[36:37]
	v_add_f64 v[36:37], v[224:225], v[244:245]
	v_add_f64 v[38:39], v[246:247], -v[250:251]
	v_add_f64 v[220:221], v[36:37], v[248:249]
	v_add_f64 v[36:37], v[244:245], v[248:249]
	;; [unrolled: 7-line block ×4, first 2 shown]
	v_fma_f64 v[24:25], v[36:37], -0.5, v[24:25]
	v_add_f64 v[36:37], v[30:31], -v[34:35]
	v_fma_f64 v[252:253], v[36:37], s[2:3], v[24:25]
	v_fma_f64 v[248:249], v[36:37], s[4:5], v[24:25]
	v_add_f64 v[24:25], v[26:27], v[30:31]
	v_add_f64 v[246:247], v[24:25], v[34:35]
	;; [unrolled: 1-line block ×3, first 2 shown]
	v_add_f64 v[30:31], v[238:239], -v[242:243]
	v_add_f64 v[34:35], v[236:237], -v[240:241]
	v_fma_f64 v[24:25], v[24:25], -0.5, v[26:27]
	v_add_f64 v[26:27], v[28:29], -v[32:33]
	v_fma_f64 v[254:255], v[26:27], s[4:5], v[24:25]
	v_fma_f64 v[250:251], v[26:27], s[2:3], v[24:25]
	v_add_f64 v[26:27], v[236:237], v[240:241]
	v_add_f64 v[24:25], v[232:233], v[236:237]
	v_fma_f64 v[26:27], v[26:27], -0.5, v[232:233]
	v_add_f64 v[24:25], v[24:25], v[240:241]
	v_fma_f64 v[28:29], v[30:31], s[2:3], v[26:27]
	v_fma_f64 v[232:233], v[30:31], s[4:5], v[26:27]
	v_add_f64 v[30:31], v[238:239], v[242:243]
	v_add_f64 v[26:27], v[234:235], v[238:239]
	v_fma_f64 v[32:33], v[30:31], -0.5, v[234:235]
	v_add_f64 v[26:27], v[26:27], v[242:243]
	v_fma_f64 v[30:31], v[34:35], s[4:5], v[32:33]
	v_fma_f64 v[234:235], v[34:35], s[2:3], v[32:33]
	v_add_f64 v[34:35], v[212:213], v[216:217]
	v_add_f64 v[32:33], v[208:209], v[212:213]
	v_fma_f64 v[34:35], v[34:35], -0.5, v[208:209]
	v_fma_f64 v[208:209], v[50:51], s[4:5], v[46:47]
	v_add_f64 v[50:51], v[190:191], v[194:195]
	v_add_f64 v[46:47], v[186:187], v[190:191]
	;; [unrolled: 1-line block ×3, first 2 shown]
	v_fma_f64 v[36:37], v[38:39], s[2:3], v[34:35]
	v_fma_f64 v[40:41], v[38:39], s[4:5], v[34:35]
	v_add_f64 v[38:39], v[214:215], v[218:219]
	v_fma_f64 v[60:61], v[50:51], -0.5, v[186:187]
	v_add_f64 v[34:35], v[210:211], v[214:215]
	v_add_f64 v[46:47], v[46:47], v[194:195]
	v_fma_f64 v[42:43], v[38:39], -0.5, v[210:211]
	v_fma_f64 v[50:51], v[62:63], s[4:5], v[60:61]
	v_fma_f64 v[210:211], v[62:63], s[2:3], v[60:61]
	v_add_f64 v[60:61], v[4:5], v[8:9]
	v_add_f64 v[62:63], v[10:11], -v[14:15]
	v_add_f64 v[34:35], v[34:35], v[218:219]
	v_fma_f64 v[38:39], v[44:45], s[4:5], v[42:43]
	v_fma_f64 v[42:43], v[44:45], s[2:3], v[42:43]
	v_add_f64 v[44:45], v[184:185], v[188:189]
	v_add_f64 v[188:189], v[60:61], v[12:13]
	;; [unrolled: 1-line block ×3, first 2 shown]
	v_add_f64 v[8:9], v[8:9], -v[12:13]
	v_add_f64 v[44:45], v[44:45], v[192:193]
	v_fma_f64 v[60:61], v[60:61], -0.5, v[4:5]
	v_fma_f64 v[4:5], v[62:63], s[2:3], v[60:61]
	v_fma_f64 v[192:193], v[62:63], s[4:5], v[60:61]
	v_add_f64 v[60:61], v[6:7], v[10:11]
	v_add_f64 v[10:11], v[10:11], v[14:15]
	;; [unrolled: 1-line block ×3, first 2 shown]
	v_fma_f64 v[10:11], v[10:11], -0.5, v[6:7]
	v_fma_f64 v[6:7], v[8:9], s[4:5], v[10:11]
	v_fma_f64 v[194:195], v[8:9], s[2:3], v[10:11]
	v_add_f64 v[8:9], v[180:181], v[172:173]
	v_add_f64 v[10:11], v[174:175], -v[178:179]
	v_add_f64 v[184:185], v[8:9], v[176:177]
	v_add_f64 v[8:9], v[172:173], v[176:177]
	v_fma_f64 v[8:9], v[8:9], -0.5, v[180:181]
	v_fma_f64 v[12:13], v[10:11], s[2:3], v[8:9]
	v_fma_f64 v[180:181], v[10:11], s[4:5], v[8:9]
	v_add_f64 v[8:9], v[182:183], v[174:175]
	v_add_f64 v[10:11], v[172:173], -v[176:177]
	v_add_f64 v[186:187], v[8:9], v[178:179]
	v_add_f64 v[8:9], v[174:175], v[178:179]
	v_fma_f64 v[8:9], v[8:9], -0.5, v[182:183]
	v_fma_f64 v[14:15], v[10:11], s[4:5], v[8:9]
	v_fma_f64 v[182:183], v[10:11], s[2:3], v[8:9]
	buffer_load_dword v8, off, s[36:39], 0 offset:436 ; 4-byte Folded Reload
	s_waitcnt vmcnt(0)
	ds_write_b128 v8, v[0:3]
	ds_write_b128 v8, v[20:23] offset:16
	ds_write_b128 v8, v[16:19] offset:32
	buffer_load_dword v0, off, s[36:39], 0 offset:432 ; 4-byte Folded Reload
	s_waitcnt vmcnt(0)
	ds_write_b128 v0, v[196:199]
	ds_write_b128 v0, v[204:207] offset:16
	ds_write_b128 v0, v[200:203] offset:32
	;; [unrolled: 5-line block ×8, first 2 shown]
	s_and_saveexec_b32 s1, vcc_lo
	s_cbranch_execz .LBB0_21
; %bb.20:
	buffer_load_dword v0, off, s[36:39], 0 offset:1424 ; 4-byte Folded Reload
	s_waitcnt vmcnt(0)
	v_lshlrev_b32_e32 v0, 4, v0
	ds_write_b128 v0, v[184:187]
	ds_write_b128 v0, v[12:15] offset:16
	ds_write_b128 v0, v[180:183] offset:32
.LBB0_21:
	s_or_b32 exec_lo, exec_lo, s1
	s_waitcnt lgkmcnt(0)
	s_barrier
	buffer_gl0_inv
	ds_read_b128 v[16:19], v156
	ds_read_b128 v[192:195], v156 offset:1008
	ds_read_b128 v[240:243], v156 offset:8400
	;; [unrolled: 1-line block ×23, first 2 shown]
	s_and_saveexec_b32 s1, vcc_lo
	s_cbranch_execz .LBB0_23
; %bb.22:
	ds_read_b128 v[184:187], v156 offset:8064
	ds_read_b128 v[12:15], v156 offset:16464
	;; [unrolled: 1-line block ×3, first 2 shown]
.LBB0_23:
	s_or_b32 exec_lo, exec_lo, s1
	s_clause 0x3
	buffer_load_dword v38, off, s[36:39], 0 offset:480
	buffer_load_dword v39, off, s[36:39], 0 offset:484
	;; [unrolled: 1-line block ×4, first 2 shown]
	s_mov_b32 s4, s2
	s_waitcnt vmcnt(0) lgkmcnt(21)
	v_mul_f64 v[36:37], v[40:41], v[242:243]
	v_fma_f64 v[60:61], v[38:39], v[240:241], v[36:37]
	v_mul_f64 v[36:37], v[40:41], v[240:241]
	v_fma_f64 v[62:63], v[38:39], v[242:243], -v[36:37]
	s_clause 0x3
	buffer_load_dword v38, off, s[36:39], 0 offset:464
	buffer_load_dword v39, off, s[36:39], 0 offset:468
	buffer_load_dword v40, off, s[36:39], 0 offset:472
	buffer_load_dword v41, off, s[36:39], 0 offset:476
	s_waitcnt vmcnt(0) lgkmcnt(19)
	v_mul_f64 v[36:37], v[40:41], v[238:239]
	v_fma_f64 v[64:65], v[38:39], v[236:237], v[36:37]
	v_mul_f64 v[36:37], v[40:41], v[236:237]
	v_fma_f64 v[66:67], v[38:39], v[238:239], -v[36:37]
	s_clause 0x3
	buffer_load_dword v38, off, s[36:39], 0 offset:520
	buffer_load_dword v39, off, s[36:39], 0 offset:524
	buffer_load_dword v40, off, s[36:39], 0 offset:528
	buffer_load_dword v41, off, s[36:39], 0 offset:532
	s_waitcnt vmcnt(0)
	v_mul_f64 v[36:37], v[40:41], v[234:235]
	v_fma_f64 v[68:69], v[38:39], v[232:233], v[36:37]
	v_mul_f64 v[36:37], v[40:41], v[232:233]
	v_fma_f64 v[70:71], v[38:39], v[234:235], -v[36:37]
	s_clause 0x3
	buffer_load_dword v38, off, s[36:39], 0 offset:504
	buffer_load_dword v39, off, s[36:39], 0 offset:508
	buffer_load_dword v40, off, s[36:39], 0 offset:512
	buffer_load_dword v41, off, s[36:39], 0 offset:516
	s_waitcnt vmcnt(0) lgkmcnt(18)
	v_mul_f64 v[36:37], v[40:41], v[230:231]
	v_fma_f64 v[157:158], v[38:39], v[228:229], v[36:37]
	v_mul_f64 v[36:37], v[40:41], v[228:229]
	v_fma_f64 v[246:247], v[38:39], v[230:231], -v[36:37]
	s_clause 0x3
	buffer_load_dword v38, off, s[36:39], 0 offset:572
	buffer_load_dword v39, off, s[36:39], 0 offset:576
	buffer_load_dword v40, off, s[36:39], 0 offset:580
	buffer_load_dword v41, off, s[36:39], 0 offset:584
	s_waitcnt vmcnt(0) lgkmcnt(15)
	v_mul_f64 v[36:37], v[40:41], v[226:227]
	v_fma_f64 v[244:245], v[38:39], v[224:225], v[36:37]
	v_mul_f64 v[36:37], v[40:41], v[224:225]
	v_fma_f64 v[248:249], v[38:39], v[226:227], -v[36:37]
	s_clause 0x3
	buffer_load_dword v38, off, s[36:39], 0 offset:552
	buffer_load_dword v39, off, s[36:39], 0 offset:556
	buffer_load_dword v40, off, s[36:39], 0 offset:560
	buffer_load_dword v41, off, s[36:39], 0 offset:564
	s_waitcnt vmcnt(0) lgkmcnt(13)
	v_mul_f64 v[36:37], v[40:41], v[222:223]
	v_fma_f64 v[250:251], v[38:39], v[220:221], v[36:37]
	v_mul_f64 v[36:37], v[40:41], v[220:221]
	v_fma_f64 v[252:253], v[38:39], v[222:223], -v[36:37]
	s_clause 0x3
	buffer_load_dword v38, off, s[36:39], 0 offset:616
	buffer_load_dword v39, off, s[36:39], 0 offset:620
	buffer_load_dword v40, off, s[36:39], 0 offset:624
	buffer_load_dword v41, off, s[36:39], 0 offset:628
	s_waitcnt vmcnt(0)
	v_mul_f64 v[36:37], v[40:41], v[218:219]
	v_fma_f64 v[240:241], v[38:39], v[216:217], v[36:37]
	v_mul_f64 v[36:37], v[40:41], v[216:217]
	v_fma_f64 v[218:219], v[38:39], v[218:219], -v[36:37]
	s_clause 0x3
	buffer_load_dword v38, off, s[36:39], 0 offset:600
	buffer_load_dword v39, off, s[36:39], 0 offset:604
	buffer_load_dword v40, off, s[36:39], 0 offset:608
	buffer_load_dword v41, off, s[36:39], 0 offset:612
	s_waitcnt vmcnt(0) lgkmcnt(12)
	v_mul_f64 v[36:37], v[40:41], v[214:215]
	v_fma_f64 v[242:243], v[38:39], v[212:213], v[36:37]
	v_mul_f64 v[36:37], v[40:41], v[212:213]
	v_fma_f64 v[214:215], v[38:39], v[214:215], -v[36:37]
	s_clause 0x3
	buffer_load_dword v38, off, s[36:39], 0 offset:648
	buffer_load_dword v39, off, s[36:39], 0 offset:652
	buffer_load_dword v40, off, s[36:39], 0 offset:656
	buffer_load_dword v41, off, s[36:39], 0 offset:660
	;; [unrolled: 40-line block ×3, first 2 shown]
	s_waitcnt vmcnt(0) lgkmcnt(3)
	v_mul_f64 v[36:37], v[40:41], v[34:35]
	v_fma_f64 v[48:49], v[38:39], v[32:33], v[36:37]
	v_mul_f64 v[32:33], v[40:41], v[32:33]
	v_fma_f64 v[50:51], v[38:39], v[34:35], -v[32:33]
	s_clause 0x3
	buffer_load_dword v34, off, s[36:39], 0 offset:696
	buffer_load_dword v35, off, s[36:39], 0 offset:700
	;; [unrolled: 1-line block ×4, first 2 shown]
	s_waitcnt vmcnt(0) lgkmcnt(1)
	v_mul_f64 v[32:33], v[36:37], v[30:31]
	v_fma_f64 v[220:221], v[34:35], v[28:29], v[32:33]
	v_mul_f64 v[28:29], v[36:37], v[28:29]
	v_fma_f64 v[222:223], v[34:35], v[30:31], -v[28:29]
	s_clause 0x3
	buffer_load_dword v30, off, s[36:39], 0 offset:752
	buffer_load_dword v31, off, s[36:39], 0 offset:756
	;; [unrolled: 1-line block ×4, first 2 shown]
	s_waitcnt vmcnt(0)
	v_mul_f64 v[28:29], v[32:33], v[26:27]
	v_fma_f64 v[40:41], v[30:31], v[24:25], v[28:29]
	v_mul_f64 v[24:25], v[32:33], v[24:25]
	v_fma_f64 v[42:43], v[30:31], v[26:27], -v[24:25]
	s_clause 0x3
	buffer_load_dword v26, off, s[36:39], 0 offset:772
	buffer_load_dword v27, off, s[36:39], 0 offset:776
	buffer_load_dword v28, off, s[36:39], 0 offset:780
	buffer_load_dword v29, off, s[36:39], 0 offset:784
	v_add_f64 v[30:31], v[236:237], v[238:239]
	s_waitcnt vmcnt(0) lgkmcnt(0)
	v_mul_f64 v[24:25], v[28:29], v[22:23]
	v_fma_f64 v[44:45], v[26:27], v[20:21], v[24:25]
	v_mul_f64 v[20:21], v[28:29], v[20:21]
	v_fma_f64 v[46:47], v[26:27], v[22:23], -v[20:21]
	s_clause 0x3
	buffer_load_dword v22, off, s[36:39], 0 offset:872
	buffer_load_dword v23, off, s[36:39], 0 offset:876
	;; [unrolled: 1-line block ×4, first 2 shown]
	v_add_f64 v[26:27], v[70:71], -v[246:247]
	s_waitcnt vmcnt(0)
	v_mul_f64 v[20:21], v[24:25], v[14:15]
	v_fma_f64 v[32:33], v[22:23], v[12:13], v[20:21]
	v_mul_f64 v[12:13], v[24:25], v[12:13]
	v_add_f64 v[24:25], v[60:61], -v[64:65]
	v_fma_f64 v[38:39], v[22:23], v[14:15], -v[12:13]
	s_clause 0x3
	buffer_load_dword v20, off, s[36:39], 0 offset:888
	buffer_load_dword v21, off, s[36:39], 0 offset:892
	;; [unrolled: 1-line block ×4, first 2 shown]
	v_add_f64 v[14:15], v[60:61], v[64:65]
	s_waitcnt vmcnt(0)
	s_barrier
	buffer_gl0_inv
	v_fma_f64 v[14:15], v[14:15], -0.5, v[16:17]
	v_mul_f64 v[12:13], v[22:23], v[182:183]
	v_fma_f64 v[34:35], v[20:21], v[180:181], v[12:13]
	v_mul_f64 v[12:13], v[22:23], v[180:181]
	v_add_f64 v[22:23], v[62:63], v[66:67]
	v_fma_f64 v[36:37], v[20:21], v[182:183], -v[12:13]
	v_add_f64 v[12:13], v[16:17], v[60:61]
	v_add_f64 v[16:17], v[62:63], -v[66:67]
	v_add_f64 v[60:61], v[226:227], -v[234:235]
	v_add_f64 v[12:13], v[12:13], v[64:65]
	v_fma_f64 v[20:21], v[16:17], s[2:3], v[14:15]
	v_fma_f64 v[16:17], v[16:17], s[4:5], v[14:15]
	v_add_f64 v[14:15], v[18:19], v[62:63]
	v_fma_f64 v[18:19], v[22:23], -0.5, v[18:19]
	v_add_f64 v[62:63], v[228:229], -v[232:233]
	v_add_f64 v[14:15], v[14:15], v[66:67]
	v_fma_f64 v[22:23], v[24:25], s[4:5], v[18:19]
	v_fma_f64 v[18:19], v[24:25], s[2:3], v[18:19]
	v_add_f64 v[24:25], v[192:193], v[68:69]
	v_add_f64 v[180:181], v[24:25], v[157:158]
	;; [unrolled: 1-line block ×3, first 2 shown]
	v_fma_f64 v[24:25], v[24:25], -0.5, v[192:193]
	v_fma_f64 v[196:197], v[26:27], s[2:3], v[24:25]
	v_fma_f64 v[192:193], v[26:27], s[4:5], v[24:25]
	v_add_f64 v[24:25], v[194:195], v[70:71]
	v_add_f64 v[26:27], v[68:69], -v[157:158]
	v_add_f64 v[182:183], v[24:25], v[246:247]
	v_add_f64 v[24:25], v[70:71], v[246:247]
	v_fma_f64 v[24:25], v[24:25], -0.5, v[194:195]
	v_fma_f64 v[198:199], v[26:27], s[4:5], v[24:25]
	v_fma_f64 v[194:195], v[26:27], s[2:3], v[24:25]
	v_add_f64 v[24:25], v[188:189], v[244:245]
	v_add_f64 v[26:27], v[248:249], -v[252:253]
	v_add_f64 v[200:201], v[24:25], v[250:251]
	v_add_f64 v[24:25], v[244:245], v[250:251]
	;; [unrolled: 7-line block ×5, first 2 shown]
	v_fma_f64 v[24:25], v[24:25], -0.5, v[178:179]
	v_fma_f64 v[218:219], v[26:27], s[4:5], v[24:25]
	v_fma_f64 v[214:215], v[26:27], s[2:3], v[24:25]
	v_add_f64 v[26:27], v[226:227], v[234:235]
	v_add_f64 v[24:25], v[8:9], v[226:227]
	v_fma_f64 v[8:9], v[26:27], -0.5, v[8:9]
	v_add_f64 v[26:27], v[236:237], -v[238:239]
	v_add_f64 v[24:25], v[24:25], v[234:235]
	v_fma_f64 v[28:29], v[26:27], s[2:3], v[8:9]
	v_fma_f64 v[8:9], v[26:27], s[4:5], v[8:9]
	v_add_f64 v[26:27], v[10:11], v[236:237]
	v_fma_f64 v[10:11], v[30:31], -0.5, v[10:11]
	v_add_f64 v[26:27], v[26:27], v[238:239]
	v_fma_f64 v[30:31], v[60:61], s[4:5], v[10:11]
	v_fma_f64 v[10:11], v[60:61], s[2:3], v[10:11]
	v_add_f64 v[60:61], v[4:5], v[224:225]
	v_add_f64 v[234:235], v[60:61], v[230:231]
	;; [unrolled: 1-line block ×3, first 2 shown]
	v_fma_f64 v[60:61], v[60:61], -0.5, v[4:5]
	v_fma_f64 v[4:5], v[62:63], s[2:3], v[60:61]
	v_fma_f64 v[226:227], v[62:63], s[4:5], v[60:61]
	v_add_f64 v[60:61], v[6:7], v[228:229]
	v_add_f64 v[62:63], v[224:225], -v[230:231]
	v_add_f64 v[236:237], v[60:61], v[232:233]
	v_add_f64 v[60:61], v[228:229], v[232:233]
	v_fma_f64 v[60:61], v[60:61], -0.5, v[6:7]
	v_fma_f64 v[6:7], v[62:63], s[4:5], v[60:61]
	v_fma_f64 v[228:229], v[62:63], s[2:3], v[60:61]
	v_add_f64 v[60:61], v[0:1], v[48:49]
	v_add_f64 v[62:63], v[50:51], -v[222:223]
	v_add_f64 v[230:231], v[60:61], v[220:221]
	v_add_f64 v[60:61], v[48:49], v[220:221]
	v_add_f64 v[48:49], v[48:49], -v[220:221]
	v_fma_f64 v[60:61], v[60:61], -0.5, v[0:1]
	v_fma_f64 v[0:1], v[62:63], s[2:3], v[60:61]
	v_fma_f64 v[238:239], v[62:63], s[4:5], v[60:61]
	v_add_f64 v[60:61], v[2:3], v[50:51]
	v_add_f64 v[50:51], v[50:51], v[222:223]
	;; [unrolled: 1-line block ×3, first 2 shown]
	v_fma_f64 v[50:51], v[50:51], -0.5, v[2:3]
	v_add_f64 v[60:61], v[42:43], -v[46:47]
	v_fma_f64 v[2:3], v[48:49], s[4:5], v[50:51]
	v_fma_f64 v[240:241], v[48:49], s[2:3], v[50:51]
	v_add_f64 v[50:51], v[40:41], v[44:45]
	v_add_f64 v[48:49], v[172:173], v[40:41]
	v_add_f64 v[40:41], v[40:41], -v[44:45]
	v_fma_f64 v[50:51], v[50:51], -0.5, v[172:173]
	v_add_f64 v[48:49], v[48:49], v[44:45]
	v_fma_f64 v[220:221], v[60:61], s[2:3], v[50:51]
	v_fma_f64 v[242:243], v[60:61], s[4:5], v[50:51]
	v_add_f64 v[50:51], v[174:175], v[42:43]
	v_add_f64 v[42:43], v[42:43], v[46:47]
	;; [unrolled: 1-line block ×3, first 2 shown]
	v_fma_f64 v[42:43], v[42:43], -0.5, v[174:175]
	v_fma_f64 v[222:223], v[40:41], s[4:5], v[42:43]
	v_fma_f64 v[244:245], v[40:41], s[2:3], v[42:43]
	v_add_f64 v[40:41], v[32:33], v[34:35]
	v_add_f64 v[42:43], v[38:39], -v[36:37]
	v_fma_f64 v[40:41], v[40:41], -0.5, v[184:185]
	v_fma_f64 v[172:173], v[42:43], s[2:3], v[40:41]
	v_fma_f64 v[176:177], v[42:43], s[4:5], v[40:41]
	v_add_f64 v[40:41], v[38:39], v[36:37]
	v_add_f64 v[42:43], v[32:33], -v[34:35]
	v_fma_f64 v[40:41], v[40:41], -0.5, v[186:187]
	v_fma_f64 v[174:175], v[42:43], s[4:5], v[40:41]
	v_fma_f64 v[178:179], v[42:43], s[2:3], v[40:41]
	buffer_load_dword v40, off, s[36:39], 0 offset:500 ; 4-byte Folded Reload
	s_waitcnt vmcnt(0)
	ds_write_b128 v40, v[12:15]
	ds_write_b128 v40, v[20:23] offset:48
	ds_write_b128 v40, v[16:19] offset:96
	buffer_load_dword v12, off, s[36:39], 0 offset:536 ; 4-byte Folded Reload
	s_waitcnt vmcnt(0)
	ds_write_b128 v12, v[180:183]
	ds_write_b128 v12, v[196:199] offset:48
	ds_write_b128 v12, v[192:195] offset:96
	;; [unrolled: 5-line block ×8, first 2 shown]
	s_and_saveexec_b32 s1, vcc_lo
	s_cbranch_execz .LBB0_25
; %bb.24:
	v_add_f64 v[0:1], v[186:187], v[38:39]
	v_add_f64 v[4:5], v[184:185], v[32:33]
	;; [unrolled: 1-line block ×4, first 2 shown]
	buffer_load_dword v5, off, s[36:39], 0 offset:596 ; 4-byte Folded Reload
	v_mov_b32_e32 v4, 4
	s_waitcnt vmcnt(0)
	v_lshlrev_b32_sdwa v4, v4, v5 dst_sel:DWORD dst_unused:UNUSED_PAD src0_sel:DWORD src1_sel:WORD_0
	ds_write_b128 v4, v[172:175] offset:48
	ds_write_b128 v4, v[0:3]
	ds_write_b128 v4, v[176:179] offset:96
.LBB0_25:
	s_or_b32 exec_lo, exec_lo, s1
	s_waitcnt lgkmcnt(0)
	s_barrier
	buffer_gl0_inv
	ds_read_b128 v[0:3], v156
	ds_read_b128 v[4:7], v156 offset:5040
	ds_read_b128 v[8:11], v156 offset:10080
	;; [unrolled: 1-line block ×24, first 2 shown]
	s_waitcnt lgkmcnt(23)
	v_mul_f64 v[28:29], v[58:59], v[6:7]
	s_mov_b32 s14, 0x134454ff
	s_mov_b32 s15, 0xbfee6f0e
	;; [unrolled: 1-line block ×10, first 2 shown]
	v_fma_f64 v[30:31], v[56:57], v[4:5], v[28:29]
	v_mul_f64 v[4:5], v[58:59], v[4:5]
	v_fma_f64 v[58:59], v[56:57], v[6:7], -v[4:5]
	s_waitcnt lgkmcnt(22)
	v_mul_f64 v[4:5], v[54:55], v[10:11]
	v_fma_f64 v[42:43], v[52:53], v[8:9], v[4:5]
	v_mul_f64 v[4:5], v[54:55], v[8:9]
	s_clause 0x3
	buffer_load_dword v6, off, s[36:39], 0 offset:1208
	buffer_load_dword v7, off, s[36:39], 0 offset:1212
	;; [unrolled: 1-line block ×4, first 2 shown]
	v_add_f64 v[40:41], v[30:31], -v[42:43]
	v_fma_f64 v[54:55], v[52:53], v[10:11], -v[4:5]
	s_waitcnt vmcnt(0) lgkmcnt(21)
	v_mul_f64 v[4:5], v[8:9], v[14:15]
	v_fma_f64 v[228:229], v[6:7], v[12:13], v[4:5]
	v_mul_f64 v[4:5], v[8:9], v[12:13]
	v_fma_f64 v[224:225], v[6:7], v[14:15], -v[4:5]
	s_clause 0x3
	buffer_load_dword v6, off, s[36:39], 0 offset:1160
	buffer_load_dword v7, off, s[36:39], 0 offset:1164
	;; [unrolled: 1-line block ×4, first 2 shown]
	s_waitcnt lgkmcnt(2)
	v_mul_f64 v[14:15], v[82:83], v[62:63]
	s_waitcnt vmcnt(0)
	v_mul_f64 v[4:5], v[8:9], v[18:19]
	v_fma_f64 v[230:231], v[6:7], v[16:17], v[4:5]
	v_mul_f64 v[4:5], v[8:9], v[16:17]
	v_add_f64 v[56:57], v[230:231], -v[228:229]
	v_fma_f64 v[226:227], v[6:7], v[18:19], -v[4:5]
	s_clause 0x3
	buffer_load_dword v6, off, s[36:39], 0 offset:1096
	buffer_load_dword v7, off, s[36:39], 0 offset:1100
	;; [unrolled: 1-line block ×4, first 2 shown]
	v_add_f64 v[56:57], v[40:41], v[56:57]
	v_add_f64 v[52:53], v[58:59], -v[226:227]
	s_waitcnt vmcnt(0)
	v_mul_f64 v[4:5], v[8:9], v[22:23]
	v_fma_f64 v[216:217], v[6:7], v[20:21], v[4:5]
	v_mul_f64 v[4:5], v[8:9], v[20:21]
	s_waitcnt lgkmcnt(1)
	v_mul_f64 v[20:21], v[86:87], v[66:67]
	v_fma_f64 v[198:199], v[6:7], v[22:23], -v[4:5]
	s_clause 0x3
	buffer_load_dword v6, off, s[36:39], 0 offset:1128
	buffer_load_dword v7, off, s[36:39], 0 offset:1132
	;; [unrolled: 1-line block ×4, first 2 shown]
	v_add_f64 v[22:23], v[42:43], v[228:229]
	v_fma_f64 v[22:23], v[22:23], -0.5, v[0:1]
	v_fma_f64 v[28:29], v[52:53], s[14:15], v[22:23]
	v_fma_f64 v[22:23], v[52:53], s[12:13], v[22:23]
	s_waitcnt vmcnt(0)
	v_mul_f64 v[4:5], v[8:9], v[26:27]
	v_fma_f64 v[218:219], v[6:7], v[24:25], v[4:5]
	v_mul_f64 v[4:5], v[8:9], v[24:25]
	v_fma_f64 v[200:201], v[6:7], v[26:27], -v[4:5]
	s_clause 0x3
	buffer_load_dword v6, off, s[36:39], 0 offset:1080
	buffer_load_dword v7, off, s[36:39], 0 offset:1084
	;; [unrolled: 1-line block ×4, first 2 shown]
	s_waitcnt vmcnt(0)
	v_mul_f64 v[4:5], v[8:9], v[34:35]
	v_fma_f64 v[220:221], v[6:7], v[32:33], v[4:5]
	v_mul_f64 v[4:5], v[8:9], v[32:33]
	v_fma_f64 v[32:33], v[80:81], v[60:61], v[14:15]
	v_mul_f64 v[14:15], v[82:83], v[60:61]
	v_add_f64 v[60:61], v[54:55], -v[224:225]
	v_fma_f64 v[204:205], v[6:7], v[34:35], -v[4:5]
	s_clause 0x3
	buffer_load_dword v6, off, s[36:39], 0 offset:1064
	buffer_load_dword v7, off, s[36:39], 0 offset:1068
	;; [unrolled: 1-line block ×4, first 2 shown]
	v_fma_f64 v[34:35], v[84:85], v[64:65], v[20:21]
	v_mul_f64 v[20:21], v[86:87], v[64:65]
	v_fma_f64 v[28:29], v[60:61], s[4:5], v[28:29]
	v_fma_f64 v[22:23], v[60:61], s[16:17], v[22:23]
	v_fma_f64 v[14:15], v[80:81], v[62:63], -v[14:15]
	v_add_f64 v[62:63], v[228:229], -v[230:231]
	v_add_f64 v[64:65], v[226:227], -v[224:225]
	;; [unrolled: 1-line block ×3, first 2 shown]
	v_fma_f64 v[24:25], v[84:85], v[66:67], -v[20:21]
	s_waitcnt lgkmcnt(0)
	v_mul_f64 v[20:21], v[90:91], v[70:71]
	v_fma_f64 v[40:41], v[56:57], s[2:3], v[28:29]
	v_fma_f64 v[28:29], v[56:57], s[2:3], v[22:23]
	v_add_f64 v[22:23], v[30:31], v[230:231]
	v_add_f64 v[56:57], v[42:43], -v[30:31]
	v_add_f64 v[66:67], v[200:201], -v[204:205]
	v_add_f64 v[62:63], v[56:57], v[62:63]
	s_waitcnt vmcnt(0)
	v_mul_f64 v[4:5], v[8:9], v[38:39]
	v_fma_f64 v[222:223], v[6:7], v[36:37], v[4:5]
	v_mul_f64 v[4:5], v[8:9], v[36:37]
	v_fma_f64 v[214:215], v[6:7], v[38:39], -v[4:5]
	s_clause 0x3
	buffer_load_dword v6, off, s[36:39], 0 offset:1048
	buffer_load_dword v7, off, s[36:39], 0 offset:1052
	buffer_load_dword v8, off, s[36:39], 0 offset:1056
	buffer_load_dword v9, off, s[36:39], 0 offset:1060
	v_add_f64 v[82:83], v[204:205], -v[214:215]
	v_add_f64 v[80:81], v[80:81], v[82:83]
	s_waitcnt vmcnt(0)
	v_mul_f64 v[4:5], v[8:9], v[50:51]
	v_fma_f64 v[46:47], v[6:7], v[48:49], v[4:5]
	v_mul_f64 v[4:5], v[8:9], v[48:49]
	v_fma_f64 v[16:17], v[6:7], v[50:51], -v[4:5]
	s_clause 0x3
	buffer_load_dword v6, off, s[36:39], 0 offset:1032
	buffer_load_dword v7, off, s[36:39], 0 offset:1036
	;; [unrolled: 1-line block ×4, first 2 shown]
	s_waitcnt vmcnt(0)
	v_mul_f64 v[4:5], v[8:9], v[208:209]
	v_fma_f64 v[48:49], v[6:7], v[206:207], v[4:5]
	v_mul_f64 v[4:5], v[8:9], v[206:207]
	v_add_f64 v[84:85], v[46:47], -v[48:49]
	v_fma_f64 v[36:37], v[6:7], v[208:209], -v[4:5]
	s_clause 0x3
	buffer_load_dword v6, off, s[36:39], 0 offset:1016
	buffer_load_dword v7, off, s[36:39], 0 offset:1020
	;; [unrolled: 1-line block ×4, first 2 shown]
	s_waitcnt vmcnt(0)
	v_mul_f64 v[4:5], v[8:9], v[212:213]
	v_fma_f64 v[50:51], v[6:7], v[210:211], v[4:5]
	v_mul_f64 v[4:5], v[8:9], v[210:211]
	v_fma_f64 v[38:39], v[6:7], v[212:213], -v[4:5]
	s_clause 0x3
	buffer_load_dword v6, off, s[36:39], 0 offset:1000
	buffer_load_dword v7, off, s[36:39], 0 offset:1004
	;; [unrolled: 1-line block ×4, first 2 shown]
	v_fma_f64 v[212:213], v[88:89], v[68:69], v[20:21]
	v_mul_f64 v[20:21], v[90:91], v[68:69]
	v_add_f64 v[68:69], v[222:223], -v[220:221]
	v_add_f64 v[90:91], v[48:49], -v[46:47]
	;; [unrolled: 1-line block ×3, first 2 shown]
	v_fma_f64 v[26:27], v[88:89], v[70:71], -v[20:21]
	v_add_f64 v[20:21], v[0:1], v[30:31]
	v_fma_f64 v[0:1], v[22:23], -0.5, v[0:1]
	v_add_f64 v[70:71], v[218:219], -v[216:217]
	v_add_f64 v[20:21], v[20:21], v[42:43]
	v_fma_f64 v[22:23], v[60:61], s[12:13], v[0:1]
	v_fma_f64 v[0:1], v[60:61], s[14:15], v[0:1]
	v_add_f64 v[60:61], v[30:31], -v[230:231]
	v_add_f64 v[20:21], v[20:21], v[228:229]
	v_fma_f64 v[22:23], v[52:53], s[4:5], v[22:23]
	v_fma_f64 v[0:1], v[52:53], s[16:17], v[0:1]
	v_add_f64 v[20:21], v[20:21], v[230:231]
	v_fma_f64 v[56:57], v[62:63], s[2:3], v[22:23]
	v_fma_f64 v[52:53], v[62:63], s[2:3], v[0:1]
	v_add_f64 v[0:1], v[2:3], v[58:59]
	v_add_f64 v[62:63], v[42:43], -v[228:229]
	v_add_f64 v[42:43], v[58:59], -v[54:55]
	v_add_f64 v[0:1], v[0:1], v[54:55]
	v_add_f64 v[64:65], v[42:43], v[64:65]
	;; [unrolled: 1-line block ×5, first 2 shown]
	v_add_f64 v[54:55], v[54:55], -v[58:59]
	v_fma_f64 v[0:1], v[0:1], -0.5, v[2:3]
	v_fma_f64 v[30:31], v[60:61], s[12:13], v[0:1]
	v_fma_f64 v[0:1], v[60:61], s[14:15], v[0:1]
	;; [unrolled: 1-line block ×6, first 2 shown]
	v_add_f64 v[0:1], v[58:59], v[226:227]
	v_add_f64 v[58:59], v[224:225], -v[226:227]
	v_add_f64 v[64:65], v[216:217], -v[218:219]
	v_fma_f64 v[0:1], v[0:1], -0.5, v[2:3]
	v_add_f64 v[54:55], v[54:55], v[58:59]
	v_add_f64 v[64:65], v[64:65], v[68:69]
	v_fma_f64 v[2:3], v[62:63], s[14:15], v[0:1]
	v_fma_f64 v[0:1], v[62:63], s[12:13], v[0:1]
	;; [unrolled: 1-line block ×4, first 2 shown]
	s_waitcnt vmcnt(0)
	v_mul_f64 v[4:5], v[8:9], v[234:235]
	v_fma_f64 v[58:59], v[54:55], s[2:3], v[2:3]
	v_fma_f64 v[54:55], v[54:55], s[2:3], v[0:1]
	v_add_f64 v[0:1], v[192:193], v[216:217]
	v_fma_f64 v[196:197], v[6:7], v[232:233], v[4:5]
	v_mul_f64 v[4:5], v[8:9], v[232:233]
	v_add_f64 v[2:3], v[198:199], -v[214:215]
	v_add_f64 v[0:1], v[0:1], v[218:219]
	v_add_f64 v[88:89], v[196:197], -v[50:51]
	v_fma_f64 v[44:45], v[6:7], v[234:235], -v[4:5]
	s_clause 0x3
	buffer_load_dword v6, off, s[36:39], 0 offset:1272
	buffer_load_dword v7, off, s[36:39], 0 offset:1276
	;; [unrolled: 1-line block ×4, first 2 shown]
	v_add_f64 v[157:158], v[50:51], -v[196:197]
	v_add_f64 v[0:1], v[0:1], v[220:221]
	v_add_f64 v[84:85], v[84:85], v[88:89]
	;; [unrolled: 1-line block ×5, first 2 shown]
	v_fma_f64 v[0:1], v[0:1], -0.5, v[192:193]
	v_fma_f64 v[62:63], v[2:3], s[14:15], v[0:1]
	v_fma_f64 v[0:1], v[2:3], s[12:13], v[0:1]
	;; [unrolled: 1-line block ×6, first 2 shown]
	v_add_f64 v[0:1], v[216:217], v[222:223]
	v_fma_f64 v[0:1], v[0:1], -0.5, v[192:193]
	v_fma_f64 v[62:63], v[66:67], s[12:13], v[0:1]
	v_fma_f64 v[0:1], v[66:67], s[14:15], v[0:1]
	;; [unrolled: 1-line block ×4, first 2 shown]
	v_add_f64 v[2:3], v[216:217], -v[222:223]
	s_waitcnt vmcnt(0)
	v_mul_f64 v[4:5], v[8:9], v[238:239]
	v_fma_f64 v[18:19], v[6:7], v[236:237], v[4:5]
	v_mul_f64 v[4:5], v[8:9], v[236:237]
	s_clause 0x3
	buffer_load_dword v8, off, s[36:39], 0 offset:1256
	buffer_load_dword v9, off, s[36:39], 0 offset:1260
	;; [unrolled: 1-line block ×4, first 2 shown]
	v_fma_f64 v[4:5], v[6:7], v[238:239], -v[4:5]
	s_waitcnt vmcnt(0)
	v_mul_f64 v[6:7], v[10:11], v[242:243]
	v_fma_f64 v[202:203], v[8:9], v[240:241], v[6:7]
	v_mul_f64 v[6:7], v[10:11], v[240:241]
	s_clause 0x3
	buffer_load_dword v10, off, s[36:39], 0 offset:1288
	buffer_load_dword v11, off, s[36:39], 0 offset:1292
	;; [unrolled: 1-line block ×4, first 2 shown]
	s_waitcnt vmcnt(0)
	s_barrier
	buffer_gl0_inv
	v_fma_f64 v[8:9], v[8:9], v[242:243], -v[6:7]
	v_mul_f64 v[6:7], v[12:13], v[246:247]
	v_fma_f64 v[208:209], v[10:11], v[244:245], v[6:7]
	v_mul_f64 v[6:7], v[12:13], v[244:245]
	v_fma_f64 v[12:13], v[10:11], v[246:247], -v[6:7]
	v_mul_f64 v[6:7], v[74:75], v[250:251]
	v_mul_f64 v[10:11], v[78:79], v[252:253]
	v_fma_f64 v[210:211], v[72:73], v[248:249], v[6:7]
	v_mul_f64 v[6:7], v[74:75], v[248:249]
	v_fma_f64 v[10:11], v[76:77], v[254:255], -v[10:11]
	v_add_f64 v[74:75], v[218:219], -v[220:221]
	v_fma_f64 v[206:207], v[72:73], v[250:251], -v[6:7]
	v_add_f64 v[72:73], v[220:221], -v[222:223]
	v_mul_f64 v[6:7], v[78:79], v[254:255]
	v_add_f64 v[78:79], v[214:215], -v[204:205]
	v_add_f64 v[70:71], v[70:71], v[72:73]
	v_fma_f64 v[6:7], v[76:77], v[252:253], v[6:7]
	v_fma_f64 v[72:73], v[70:71], s[2:3], v[0:1]
	v_add_f64 v[0:1], v[194:195], v[198:199]
	v_fma_f64 v[76:77], v[70:71], s[2:3], v[62:63]
	v_add_f64 v[70:71], v[198:199], -v[200:201]
	v_add_f64 v[0:1], v[0:1], v[200:201]
	v_add_f64 v[78:79], v[70:71], v[78:79]
	;; [unrolled: 1-line block ×5, first 2 shown]
	v_fma_f64 v[0:1], v[0:1], -0.5, v[194:195]
	v_fma_f64 v[66:67], v[2:3], s[12:13], v[0:1]
	v_fma_f64 v[0:1], v[2:3], s[14:15], v[0:1]
	;; [unrolled: 1-line block ×6, first 2 shown]
	v_add_f64 v[0:1], v[198:199], v[214:215]
	v_fma_f64 v[0:1], v[0:1], -0.5, v[194:195]
	v_fma_f64 v[78:79], v[74:75], s[14:15], v[0:1]
	v_fma_f64 v[0:1], v[74:75], s[12:13], v[0:1]
	;; [unrolled: 1-line block ×4, first 2 shown]
	v_add_f64 v[2:3], v[16:17], -v[44:45]
	v_fma_f64 v[78:79], v[80:81], s[2:3], v[78:79]
	v_fma_f64 v[74:75], v[80:81], s[2:3], v[0:1]
	v_add_f64 v[0:1], v[188:189], v[46:47]
	v_add_f64 v[0:1], v[0:1], v[48:49]
	;; [unrolled: 1-line block ×5, first 2 shown]
	v_add_f64 v[48:49], v[48:49], -v[50:51]
	v_add_f64 v[50:51], v[16:17], -v[36:37]
	v_fma_f64 v[0:1], v[0:1], -0.5, v[188:189]
	v_fma_f64 v[82:83], v[2:3], s[14:15], v[0:1]
	v_fma_f64 v[0:1], v[2:3], s[12:13], v[0:1]
	;; [unrolled: 1-line block ×6, first 2 shown]
	v_add_f64 v[0:1], v[46:47], v[196:197]
	v_fma_f64 v[0:1], v[0:1], -0.5, v[188:189]
	v_fma_f64 v[82:83], v[86:87], s[12:13], v[0:1]
	v_fma_f64 v[0:1], v[86:87], s[14:15], v[0:1]
	v_add_f64 v[86:87], v[44:45], -v[38:39]
	v_fma_f64 v[82:83], v[2:3], s[4:5], v[82:83]
	v_fma_f64 v[0:1], v[2:3], s[16:17], v[0:1]
	v_add_f64 v[2:3], v[46:47], -v[196:197]
	v_add_f64 v[50:51], v[50:51], v[86:87]
	v_fma_f64 v[192:193], v[90:91], s[2:3], v[82:83]
	v_fma_f64 v[188:189], v[90:91], s[2:3], v[0:1]
	v_add_f64 v[0:1], v[190:191], v[16:17]
	v_add_f64 v[0:1], v[0:1], v[36:37]
	v_add_f64 v[0:1], v[0:1], v[38:39]
	v_add_f64 v[82:83], v[0:1], v[44:45]
	v_add_f64 v[0:1], v[36:37], v[38:39]
	v_fma_f64 v[0:1], v[0:1], -0.5, v[190:191]
	v_fma_f64 v[46:47], v[2:3], s[12:13], v[0:1]
	v_fma_f64 v[0:1], v[2:3], s[14:15], v[0:1]
	;; [unrolled: 1-line block ×6, first 2 shown]
	v_add_f64 v[0:1], v[16:17], v[44:45]
	v_add_f64 v[16:17], v[36:37], -v[16:17]
	v_add_f64 v[36:37], v[38:39], -v[44:45]
	;; [unrolled: 1-line block ×4, first 2 shown]
	v_fma_f64 v[0:1], v[0:1], -0.5, v[190:191]
	v_add_f64 v[16:17], v[16:17], v[36:37]
	v_add_f64 v[36:37], v[8:9], -v[12:13]
	v_add_f64 v[38:39], v[38:39], v[44:45]
	v_add_f64 v[44:45], v[202:203], -v[18:19]
	v_fma_f64 v[46:47], v[48:49], s[14:15], v[0:1]
	v_fma_f64 v[0:1], v[48:49], s[12:13], v[0:1]
	;; [unrolled: 1-line block ×4, first 2 shown]
	v_add_f64 v[2:3], v[4:5], -v[206:207]
	v_fma_f64 v[194:195], v[16:17], s[2:3], v[46:47]
	v_fma_f64 v[190:191], v[16:17], s[2:3], v[0:1]
	v_add_f64 v[0:1], v[184:185], v[18:19]
	v_add_f64 v[46:47], v[208:209], -v[210:211]
	v_add_f64 v[0:1], v[0:1], v[202:203]
	v_add_f64 v[44:45], v[44:45], v[46:47]
	;; [unrolled: 1-line block ×5, first 2 shown]
	v_fma_f64 v[0:1], v[0:1], -0.5, v[184:185]
	v_fma_f64 v[16:17], v[2:3], s[14:15], v[0:1]
	v_fma_f64 v[0:1], v[2:3], s[12:13], v[0:1]
	;; [unrolled: 1-line block ×6, first 2 shown]
	v_add_f64 v[0:1], v[18:19], v[210:211]
	v_fma_f64 v[0:1], v[0:1], -0.5, v[184:185]
	v_fma_f64 v[38:39], v[36:37], s[12:13], v[0:1]
	v_fma_f64 v[0:1], v[36:37], s[14:15], v[0:1]
	v_add_f64 v[36:37], v[202:203], -v[208:209]
	v_fma_f64 v[38:39], v[2:3], s[4:5], v[38:39]
	v_fma_f64 v[0:1], v[2:3], s[16:17], v[0:1]
	v_add_f64 v[2:3], v[18:19], -v[210:211]
	v_fma_f64 v[204:205], v[44:45], s[2:3], v[38:39]
	v_fma_f64 v[184:185], v[44:45], s[2:3], v[0:1]
	v_add_f64 v[0:1], v[186:187], v[4:5]
	v_add_f64 v[38:39], v[4:5], -v[8:9]
	v_add_f64 v[44:45], v[206:207], -v[12:13]
	v_add_f64 v[0:1], v[0:1], v[8:9]
	v_add_f64 v[38:39], v[38:39], v[44:45]
	v_add_f64 v[44:45], v[34:35], -v[212:213]
	v_add_f64 v[0:1], v[0:1], v[12:13]
	v_add_f64 v[198:199], v[0:1], v[206:207]
	v_add_f64 v[0:1], v[8:9], v[12:13]
	v_fma_f64 v[0:1], v[0:1], -0.5, v[186:187]
	v_fma_f64 v[18:19], v[2:3], s[12:13], v[0:1]
	v_fma_f64 v[0:1], v[2:3], s[14:15], v[0:1]
	;; [unrolled: 1-line block ×6, first 2 shown]
	v_add_f64 v[0:1], v[4:5], v[206:207]
	v_add_f64 v[4:5], v[8:9], -v[4:5]
	v_add_f64 v[8:9], v[12:13], -v[206:207]
	;; [unrolled: 1-line block ×3, first 2 shown]
	v_fma_f64 v[0:1], v[0:1], -0.5, v[186:187]
	v_add_f64 v[4:5], v[4:5], v[8:9]
	v_add_f64 v[8:9], v[212:213], -v[34:35]
	v_fma_f64 v[38:39], v[36:37], s[14:15], v[0:1]
	v_fma_f64 v[0:1], v[36:37], s[12:13], v[0:1]
	v_add_f64 v[36:37], v[14:15], -v[24:25]
	v_fma_f64 v[38:39], v[2:3], s[16:17], v[38:39]
	v_fma_f64 v[0:1], v[2:3], s[4:5], v[0:1]
	;; [unrolled: 1-line block ×4, first 2 shown]
	v_add_f64 v[0:1], v[180:181], v[6:7]
	v_add_f64 v[4:5], v[6:7], -v[32:33]
	v_add_f64 v[38:39], v[32:33], -v[6:7]
	v_add_f64 v[0:1], v[0:1], v[32:33]
	v_add_f64 v[4:5], v[4:5], v[8:9]
	;; [unrolled: 1-line block ×6, first 2 shown]
	v_add_f64 v[32:33], v[32:33], -v[34:35]
	v_add_f64 v[34:35], v[26:27], -v[24:25]
	v_fma_f64 v[2:3], v[0:1], -0.5, v[180:181]
	v_fma_f64 v[0:1], v[12:13], s[14:15], v[2:3]
	v_fma_f64 v[2:3], v[12:13], s[12:13], v[2:3]
	;; [unrolled: 1-line block ×6, first 2 shown]
	v_add_f64 v[2:3], v[6:7], v[212:213]
	v_fma_f64 v[2:3], v[2:3], -0.5, v[180:181]
	v_fma_f64 v[8:9], v[36:37], s[12:13], v[2:3]
	v_fma_f64 v[2:3], v[36:37], s[14:15], v[2:3]
	v_fma_f64 v[8:9], v[12:13], s[4:5], v[8:9]
	v_fma_f64 v[2:3], v[12:13], s[16:17], v[2:3]
	v_fma_f64 v[8:9], v[38:39], s[2:3], v[8:9]
	v_fma_f64 v[12:13], v[38:39], s[2:3], v[2:3]
	v_add_f64 v[2:3], v[182:183], v[10:11]
	v_add_f64 v[38:39], v[6:7], -v[212:213]
	v_add_f64 v[6:7], v[10:11], -v[14:15]
	v_add_f64 v[2:3], v[2:3], v[14:15]
	v_add_f64 v[6:7], v[6:7], v[34:35]
	;; [unrolled: 1-line block ×5, first 2 shown]
	v_fma_f64 v[36:37], v[2:3], -0.5, v[182:183]
	v_fma_f64 v[2:3], v[38:39], s[12:13], v[36:37]
	v_fma_f64 v[34:35], v[38:39], s[14:15], v[36:37]
	;; [unrolled: 1-line block ×6, first 2 shown]
	v_add_f64 v[34:35], v[10:11], v[26:27]
	v_add_f64 v[10:11], v[14:15], -v[10:11]
	v_add_f64 v[14:15], v[24:25], -v[26:27]
	v_fma_f64 v[34:35], v[34:35], -0.5, v[182:183]
	v_add_f64 v[14:15], v[10:11], v[14:15]
	v_fma_f64 v[36:37], v[32:33], s[14:15], v[34:35]
	v_fma_f64 v[24:25], v[32:33], s[12:13], v[34:35]
	;; [unrolled: 1-line block ×6, first 2 shown]
	buffer_load_dword v24, off, s[36:39], 0 offset:496 ; 4-byte Folded Reload
	s_waitcnt vmcnt(0)
	ds_write_b128 v24, v[20:23]
	ds_write_b128 v24, v[40:43] offset:144
	ds_write_b128 v24, v[56:59] offset:288
	ds_write_b128 v24, v[52:55] offset:432
	ds_write_b128 v24, v[28:31] offset:576
	buffer_load_dword v20, off, s[36:39], 0 offset:788 ; 4-byte Folded Reload
	s_waitcnt vmcnt(0)
	ds_write_b128 v20, v[60:63]
	ds_write_b128 v20, v[68:71] offset:144
	ds_write_b128 v20, v[76:79] offset:288
	ds_write_b128 v20, v[72:75] offset:432
	ds_write_b128 v20, v[64:67] offset:576
	buffer_load_dword v20, off, s[36:39], 0 offset:768 ; 4-byte Folded Reload
	s_waitcnt vmcnt(0)
	ds_write_b128 v20, v[80:83]
	ds_write_b128 v20, v[88:91] offset:144
	ds_write_b128 v20, v[192:195] offset:288
	ds_write_b128 v20, v[188:191] offset:432
	ds_write_b128 v20, v[84:87] offset:576
	buffer_load_dword v20, off, s[36:39], 0 offset:748 ; 4-byte Folded Reload
	s_waitcnt vmcnt(0)
	ds_write_b128 v20, v[196:199]
	ds_write_b128 v20, v[200:203] offset:144
	ds_write_b128 v20, v[204:207] offset:288
	ds_write_b128 v20, v[184:187] offset:432
	ds_write_b128 v20, v[16:19] offset:576
	buffer_load_dword v16, off, s[36:39], 0 offset:744 ; 4-byte Folded Reload
	s_waitcnt vmcnt(0)
	ds_write_b128 v16, v[208:211]
	ds_write_b128 v16, v[0:3] offset:144
	ds_write_b128 v16, v[8:11] offset:288
	ds_write_b128 v16, v[12:15] offset:432
	ds_write_b128 v16, v[4:7] offset:576
	s_waitcnt lgkmcnt(0)
	s_barrier
	buffer_gl0_inv
	ds_read_b128 v[16:19], v156
	ds_read_b128 v[196:199], v156 offset:3600
	ds_read_b128 v[192:195], v156 offset:7200
	;; [unrolled: 1-line block ×20, first 2 shown]
	s_and_saveexec_b32 s1, s0
	s_cbranch_execz .LBB0_27
; %bb.26:
	ds_read_b128 v[0:3], v156 offset:3024
	ds_read_b128 v[8:11], v156 offset:6624
	;; [unrolled: 1-line block ×7, first 2 shown]
	s_waitcnt lgkmcnt(0)
	buffer_store_dword v36, off, s[36:39], 0 offset:4 ; 4-byte Folded Spill
	buffer_store_dword v37, off, s[36:39], 0 offset:8 ; 4-byte Folded Spill
	;; [unrolled: 1-line block ×4, first 2 shown]
.LBB0_27:
	s_or_b32 exec_lo, exec_lo, s1
	s_clause 0x7
	buffer_load_dword v44, off, s[36:39], 0 offset:856
	buffer_load_dword v45, off, s[36:39], 0 offset:860
	;; [unrolled: 1-line block ×8, first 2 shown]
	s_mov_b32 s2, 0x37e14327
	s_mov_b32 s4, 0x36b3c0b5
	;; [unrolled: 1-line block ×20, first 2 shown]
	s_waitcnt vmcnt(4) lgkmcnt(19)
	v_mul_f64 v[36:37], v[46:47], v[198:199]
	v_mul_f64 v[38:39], v[46:47], v[196:197]
	s_waitcnt vmcnt(0) lgkmcnt(18)
	v_mul_f64 v[46:47], v[50:51], v[192:193]
	v_fma_f64 v[36:37], v[44:45], v[196:197], v[36:37]
	v_fma_f64 v[38:39], v[44:45], v[198:199], -v[38:39]
	v_mul_f64 v[44:45], v[50:51], v[194:195]
	v_fma_f64 v[46:47], v[48:49], v[194:195], -v[46:47]
	v_fma_f64 v[44:45], v[48:49], v[192:193], v[44:45]
	s_clause 0x3
	buffer_load_dword v192, off, s[36:39], 0 offset:808
	buffer_load_dword v193, off, s[36:39], 0 offset:812
	;; [unrolled: 1-line block ×4, first 2 shown]
	s_waitcnt vmcnt(0) lgkmcnt(17)
	v_mul_f64 v[48:49], v[194:195], v[190:191]
	v_mul_f64 v[50:51], v[194:195], v[188:189]
	v_fma_f64 v[48:49], v[192:193], v[188:189], v[48:49]
	v_fma_f64 v[50:51], v[192:193], v[190:191], -v[50:51]
	s_clause 0x3
	buffer_load_dword v188, off, s[36:39], 0 offset:792
	buffer_load_dword v189, off, s[36:39], 0 offset:796
	buffer_load_dword v190, off, s[36:39], 0 offset:800
	buffer_load_dword v191, off, s[36:39], 0 offset:804
	s_waitcnt vmcnt(0) lgkmcnt(16)
	v_mul_f64 v[157:158], v[190:191], v[186:187]
	v_fma_f64 v[157:158], v[188:189], v[184:185], v[157:158]
	v_mul_f64 v[184:185], v[190:191], v[184:185]
	v_fma_f64 v[202:203], v[188:189], v[186:187], -v[184:185]
	s_clause 0x3
	buffer_load_dword v186, off, s[36:39], 0 offset:840
	buffer_load_dword v187, off, s[36:39], 0 offset:844
	buffer_load_dword v188, off, s[36:39], 0 offset:848
	buffer_load_dword v189, off, s[36:39], 0 offset:852
	s_waitcnt vmcnt(0) lgkmcnt(15)
	v_mul_f64 v[184:185], v[188:189], v[182:183]
	v_fma_f64 v[204:205], v[186:187], v[180:181], v[184:185]
	v_mul_f64 v[180:181], v[188:189], v[180:181]
	;; [unrolled: 10-line block ×4, first 2 shown]
	s_clause 0x3
	buffer_load_dword v86, off, s[36:39], 0 offset:968
	buffer_load_dword v87, off, s[36:39], 0 offset:972
	buffer_load_dword v88, off, s[36:39], 0 offset:976
	buffer_load_dword v89, off, s[36:39], 0 offset:980
	v_fma_f64 v[200:201], v[180:181], v[90:91], -v[84:85]
	s_waitcnt vmcnt(0) lgkmcnt(11)
	v_mul_f64 v[84:85], v[88:89], v[82:83]
	v_fma_f64 v[194:195], v[86:87], v[80:81], v[84:85]
	v_mul_f64 v[80:81], v[88:89], v[80:81]
	v_fma_f64 v[196:197], v[86:87], v[82:83], -v[80:81]
	s_clause 0x3
	buffer_load_dword v82, off, s[36:39], 0 offset:936
	buffer_load_dword v83, off, s[36:39], 0 offset:940
	buffer_load_dword v84, off, s[36:39], 0 offset:944
	buffer_load_dword v85, off, s[36:39], 0 offset:948
	s_waitcnt vmcnt(0) lgkmcnt(10)
	v_mul_f64 v[80:81], v[84:85], v[78:79]
	v_fma_f64 v[188:189], v[82:83], v[76:77], v[80:81]
	v_mul_f64 v[76:77], v[84:85], v[76:77]
	v_fma_f64 v[190:191], v[82:83], v[78:79], -v[76:77]
	s_clause 0x3
	buffer_load_dword v78, off, s[36:39], 0 offset:904
	buffer_load_dword v79, off, s[36:39], 0 offset:908
	buffer_load_dword v80, off, s[36:39], 0 offset:912
	buffer_load_dword v81, off, s[36:39], 0 offset:916
	;; [unrolled: 10-line block ×9, first 2 shown]
	s_waitcnt vmcnt(0) lgkmcnt(1)
	v_mul_f64 v[40:41], v[54:55], v[34:35]
	v_fma_f64 v[180:181], v[52:53], v[32:33], v[40:41]
	s_clause 0x3
	buffer_load_dword v40, off, s[36:39], 0 offset:1192
	buffer_load_dword v41, off, s[36:39], 0 offset:1196
	;; [unrolled: 1-line block ×4, first 2 shown]
	v_mul_f64 v[32:33], v[54:55], v[32:33]
	s_waitcnt vmcnt(0) lgkmcnt(0)
	s_waitcnt_vscnt null, 0x0
	s_barrier
	buffer_gl0_inv
	v_fma_f64 v[182:183], v[52:53], v[34:35], -v[32:33]
	v_add_f64 v[34:35], v[38:39], -v[210:211]
	v_mul_f64 v[32:33], v[42:43], v[26:27]
	v_fma_f64 v[184:185], v[40:41], v[24:25], v[32:33]
	v_mul_f64 v[24:25], v[42:43], v[24:25]
	v_add_f64 v[32:33], v[36:37], -v[208:209]
	v_add_f64 v[42:43], v[46:47], -v[206:207]
	v_fma_f64 v[186:187], v[40:41], v[26:27], -v[24:25]
	v_add_f64 v[24:25], v[36:37], v[208:209]
	v_add_f64 v[26:27], v[38:39], v[210:211]
	;; [unrolled: 1-line block ×4, first 2 shown]
	v_add_f64 v[40:41], v[44:45], -v[204:205]
	v_add_f64 v[44:45], v[48:49], v[157:158]
	v_add_f64 v[46:47], v[50:51], v[202:203]
	v_add_f64 v[48:49], v[157:158], -v[48:49]
	v_add_f64 v[50:51], v[202:203], -v[50:51]
	v_add_f64 v[52:53], v[36:37], v[24:25]
	v_add_f64 v[54:55], v[38:39], v[26:27]
	v_add_f64 v[56:57], v[36:37], -v[24:25]
	v_add_f64 v[58:59], v[38:39], -v[26:27]
	;; [unrolled: 1-line block ×6, first 2 shown]
	v_add_f64 v[60:61], v[48:49], v[40:41]
	v_add_f64 v[62:63], v[50:51], v[42:43]
	v_add_f64 v[66:67], v[48:49], -v[40:41]
	v_add_f64 v[157:158], v[50:51], -v[42:43]
	;; [unrolled: 1-line block ×6, first 2 shown]
	v_add_f64 v[44:45], v[44:45], v[52:53]
	v_add_f64 v[46:47], v[46:47], v[54:55]
	v_mul_f64 v[24:25], v[24:25], s[2:3]
	v_mul_f64 v[26:27], v[26:27], s[2:3]
	;; [unrolled: 1-line block ×4, first 2 shown]
	v_add_f64 v[32:33], v[60:61], v[32:33]
	v_add_f64 v[34:35], v[62:63], v[34:35]
	v_mul_f64 v[60:61], v[66:67], s[16:17]
	v_mul_f64 v[62:63], v[157:158], s[16:17]
	;; [unrolled: 1-line block ×4, first 2 shown]
	v_add_f64 v[16:17], v[16:17], v[44:45]
	v_add_f64 v[18:19], v[18:19], v[46:47]
	v_fma_f64 v[36:37], v[36:37], s[4:5], v[24:25]
	v_fma_f64 v[38:39], v[38:39], s[4:5], v[26:27]
	v_fma_f64 v[52:53], v[56:57], s[18:19], -v[52:53]
	v_fma_f64 v[54:55], v[58:59], s[18:19], -v[54:55]
	;; [unrolled: 1-line block ×4, first 2 shown]
	v_fma_f64 v[56:57], v[48:49], s[22:23], v[60:61]
	v_fma_f64 v[58:59], v[50:51], s[22:23], v[62:63]
	v_fma_f64 v[40:41], v[40:41], s[12:13], -v[60:61]
	v_fma_f64 v[48:49], v[48:49], s[24:25], -v[66:67]
	;; [unrolled: 1-line block ×4, first 2 shown]
	v_fma_f64 v[44:45], v[44:45], s[14:15], v[16:17]
	v_fma_f64 v[46:47], v[46:47], s[14:15], v[18:19]
	;; [unrolled: 1-line block ×3, first 2 shown]
	v_add_f64 v[60:61], v[36:37], v[44:45]
	v_add_f64 v[62:63], v[38:39], v[46:47]
	;; [unrolled: 1-line block ×6, first 2 shown]
	v_fma_f64 v[52:53], v[32:33], s[26:27], v[56:57]
	v_fma_f64 v[54:55], v[34:35], s[26:27], v[58:59]
	v_fma_f64 v[56:57], v[32:33], s[26:27], v[40:41]
	v_fma_f64 v[32:33], v[34:35], s[26:27], v[50:51]
	v_fma_f64 v[58:59], v[34:35], s[26:27], v[42:43]
	v_add_f64 v[46:47], v[26:27], -v[66:67]
	v_add_f64 v[50:51], v[62:63], -v[52:53]
	v_add_f64 v[48:49], v[54:55], v[60:61]
	v_add_f64 v[34:35], v[66:67], v[26:27]
	;; [unrolled: 1-line block ×3, first 2 shown]
	v_add_f64 v[32:33], v[24:25], -v[32:33]
	v_add_f64 v[24:25], v[60:61], -v[54:55]
	v_add_f64 v[26:27], v[52:53], v[62:63]
	v_add_f64 v[52:53], v[198:199], v[70:71]
	;; [unrolled: 1-line block ×5, first 2 shown]
	v_add_f64 v[40:41], v[36:37], -v[58:59]
	v_add_f64 v[42:43], v[56:57], v[38:39]
	v_add_f64 v[36:37], v[58:59], v[36:37]
	v_add_f64 v[38:39], v[38:39], -v[56:57]
	v_add_f64 v[56:57], v[198:199], -v[70:71]
	;; [unrolled: 1-line block ×5, first 2 shown]
	v_add_f64 v[68:69], v[188:189], v[192:193]
	v_add_f64 v[70:71], v[190:191], v[72:73]
	v_add_f64 v[74:75], v[192:193], -v[188:189]
	v_add_f64 v[72:73], v[72:73], -v[190:191]
	v_add_f64 v[157:158], v[60:61], v[52:53]
	v_add_f64 v[188:189], v[62:63], v[54:55]
	v_add_f64 v[190:191], v[60:61], -v[52:53]
	v_add_f64 v[192:193], v[62:63], -v[54:55]
	v_add_f64 v[52:53], v[52:53], -v[68:69]
	v_add_f64 v[54:55], v[54:55], -v[70:71]
	v_add_f64 v[60:61], v[68:69], -v[60:61]
	v_add_f64 v[62:63], v[70:71], -v[62:63]
	v_add_f64 v[194:195], v[74:75], v[64:65]
	v_add_f64 v[196:197], v[72:73], v[66:67]
	v_add_f64 v[198:199], v[74:75], -v[64:65]
	v_add_f64 v[200:201], v[72:73], -v[66:67]
	;; [unrolled: 1-line block ×6, first 2 shown]
	v_add_f64 v[68:69], v[68:69], v[157:158]
	v_add_f64 v[70:71], v[70:71], v[188:189]
	v_mul_f64 v[52:53], v[52:53], s[2:3]
	v_mul_f64 v[54:55], v[54:55], s[2:3]
	;; [unrolled: 1-line block ×4, first 2 shown]
	v_add_f64 v[56:57], v[194:195], v[56:57]
	v_add_f64 v[58:59], v[196:197], v[58:59]
	v_mul_f64 v[194:195], v[198:199], s[16:17]
	v_mul_f64 v[196:197], v[200:201], s[16:17]
	;; [unrolled: 1-line block ×4, first 2 shown]
	v_add_f64 v[28:29], v[28:29], v[68:69]
	v_add_f64 v[30:31], v[30:31], v[70:71]
	v_fma_f64 v[60:61], v[60:61], s[4:5], v[52:53]
	v_fma_f64 v[62:63], v[62:63], s[4:5], v[54:55]
	v_fma_f64 v[157:158], v[190:191], s[18:19], -v[157:158]
	v_fma_f64 v[188:189], v[192:193], s[18:19], -v[188:189]
	;; [unrolled: 1-line block ×4, first 2 shown]
	v_fma_f64 v[190:191], v[74:75], s[22:23], v[194:195]
	v_fma_f64 v[192:193], v[72:73], s[22:23], v[196:197]
	v_fma_f64 v[64:65], v[64:65], s[12:13], -v[194:195]
	v_fma_f64 v[74:75], v[74:75], s[24:25], -v[198:199]
	;; [unrolled: 1-line block ×4, first 2 shown]
	v_fma_f64 v[68:69], v[68:69], s[14:15], v[28:29]
	v_fma_f64 v[70:71], v[70:71], s[14:15], v[30:31]
	;; [unrolled: 1-line block ×3, first 2 shown]
	v_add_f64 v[194:195], v[60:61], v[68:69]
	v_add_f64 v[196:197], v[62:63], v[70:71]
	;; [unrolled: 1-line block ×6, first 2 shown]
	v_fma_f64 v[157:158], v[56:57], s[26:27], v[190:191]
	v_fma_f64 v[188:189], v[58:59], s[26:27], v[192:193]
	;; [unrolled: 1-line block ×5, first 2 shown]
	v_add_f64 v[70:71], v[54:55], -v[198:199]
	v_add_f64 v[74:75], v[196:197], -v[157:158]
	v_add_f64 v[72:73], v[188:189], v[194:195]
	v_add_f64 v[58:59], v[198:199], v[54:55]
	;; [unrolled: 1-line block ×3, first 2 shown]
	v_add_f64 v[56:57], v[52:53], -v[56:57]
	v_add_f64 v[52:53], v[194:195], -v[188:189]
	v_add_f64 v[54:55], v[157:158], v[196:197]
	v_add_f64 v[157:158], v[88:89], v[184:185]
	;; [unrolled: 1-line block ×3, first 2 shown]
	v_add_f64 v[88:89], v[88:89], -v[184:185]
	v_add_f64 v[90:91], v[90:91], -v[186:187]
	v_add_f64 v[184:185], v[84:85], v[180:181]
	v_add_f64 v[186:187], v[86:87], v[182:183]
	v_add_f64 v[84:85], v[84:85], -v[180:181]
	v_add_f64 v[86:87], v[86:87], -v[182:183]
	v_add_f64 v[180:181], v[76:77], v[80:81]
	v_add_f64 v[182:183], v[78:79], v[82:83]
	v_add_f64 v[76:77], v[80:81], -v[76:77]
	v_add_f64 v[78:79], v[82:83], -v[78:79]
	;; [unrolled: 1-line block ×3, first 2 shown]
	v_add_f64 v[66:67], v[190:191], v[62:63]
	v_add_f64 v[60:61], v[192:193], v[60:61]
	v_add_f64 v[62:63], v[62:63], -v[190:191]
	v_add_f64 v[80:81], v[184:185], v[157:158]
	v_add_f64 v[82:83], v[186:187], v[188:189]
	v_add_f64 v[190:191], v[184:185], -v[157:158]
	v_add_f64 v[192:193], v[186:187], -v[188:189]
	;; [unrolled: 1-line block ×5, first 2 shown]
	v_add_f64 v[194:195], v[76:77], v[84:85]
	v_add_f64 v[196:197], v[78:79], v[86:87]
	v_add_f64 v[198:199], v[76:77], -v[84:85]
	v_add_f64 v[200:201], v[78:79], -v[86:87]
	v_add_f64 v[86:87], v[86:87], -v[90:91]
	v_add_f64 v[184:185], v[180:181], -v[184:185]
	v_add_f64 v[76:77], v[88:89], -v[76:77]
	v_add_f64 v[78:79], v[90:91], -v[78:79]
	v_add_f64 v[84:85], v[84:85], -v[88:89]
	v_add_f64 v[80:81], v[180:181], v[80:81]
	v_add_f64 v[82:83], v[182:183], v[82:83]
	v_mul_f64 v[157:158], v[157:158], s[2:3]
	v_mul_f64 v[180:181], v[188:189], s[2:3]
	;; [unrolled: 1-line block ×3, first 2 shown]
	v_add_f64 v[88:89], v[194:195], v[88:89]
	v_add_f64 v[90:91], v[196:197], v[90:91]
	v_mul_f64 v[194:195], v[198:199], s[16:17]
	v_mul_f64 v[196:197], v[200:201], s[16:17]
	;; [unrolled: 1-line block ×5, first 2 shown]
	v_add_f64 v[20:21], v[20:21], v[80:81]
	v_add_f64 v[22:23], v[22:23], v[82:83]
	v_fma_f64 v[184:185], v[184:185], s[4:5], v[157:158]
	v_fma_f64 v[186:187], v[186:187], s[4:5], v[180:181]
	v_fma_f64 v[188:189], v[192:193], s[18:19], -v[188:189]
	v_fma_f64 v[157:158], v[190:191], s[20:21], -v[157:158]
	;; [unrolled: 1-line block ×4, first 2 shown]
	v_fma_f64 v[192:193], v[78:79], s[22:23], v[196:197]
	v_fma_f64 v[78:79], v[78:79], s[24:25], -v[200:201]
	v_fma_f64 v[182:183], v[190:191], s[18:19], -v[182:183]
	v_fma_f64 v[190:191], v[76:77], s[22:23], v[194:195]
	v_fma_f64 v[86:87], v[86:87], s[12:13], -v[196:197]
	v_fma_f64 v[76:77], v[76:77], s[24:25], -v[198:199]
	v_fma_f64 v[80:81], v[80:81], s[14:15], v[20:21]
	v_fma_f64 v[82:83], v[82:83], s[14:15], v[22:23]
	;; [unrolled: 1-line block ×7, first 2 shown]
	v_add_f64 v[157:158], v[157:158], v[80:81]
	v_add_f64 v[188:189], v[188:189], v[82:83]
	;; [unrolled: 1-line block ×3, first 2 shown]
	v_fma_f64 v[180:181], v[88:89], s[26:27], v[84:85]
	v_add_f64 v[184:185], v[184:185], v[80:81]
	v_add_f64 v[182:183], v[182:183], v[80:81]
	;; [unrolled: 1-line block ×4, first 2 shown]
	v_add_f64 v[82:83], v[194:195], -v[198:199]
	v_add_f64 v[86:87], v[180:181], v[188:189]
	v_add_f64 v[90:91], v[188:189], -v[180:181]
	v_add_f64 v[180:181], v[157:158], -v[200:201]
	buffer_load_dword v157, off, s[36:39], 0 offset:428 ; 4-byte Folded Reload
	v_add_f64 v[76:77], v[192:193], v[184:185]
	v_add_f64 v[78:79], v[186:187], -v[190:191]
	v_add_f64 v[84:85], v[182:183], -v[196:197]
	v_add_f64 v[88:89], v[196:197], v[182:183]
	v_add_f64 v[182:183], v[198:199], v[194:195]
	v_add_f64 v[184:185], v[184:185], -v[192:193]
	v_add_f64 v[186:187], v[190:191], v[186:187]
	s_waitcnt vmcnt(0)
	ds_write_b128 v157, v[16:19]
	ds_write_b128 v157, v[48:51] offset:720
	ds_write_b128 v157, v[44:47] offset:1440
	;; [unrolled: 1-line block ×6, first 2 shown]
	buffer_load_dword v16, off, s[36:39], 0 offset:1304 ; 4-byte Folded Reload
	s_waitcnt vmcnt(0)
	ds_write_b128 v16, v[28:31]
	ds_write_b128 v16, v[72:75] offset:720
	ds_write_b128 v16, v[68:71] offset:1440
	;; [unrolled: 1-line block ×6, first 2 shown]
	ds_write_b128 v159, v[20:23]
	ds_write_b128 v159, v[76:79] offset:720
	ds_write_b128 v159, v[80:83] offset:1440
	;; [unrolled: 1-line block ×6, first 2 shown]
	s_and_saveexec_b32 s1, s0
	s_cbranch_execz .LBB0_29
; %bb.28:
	s_clause 0x1b
	buffer_load_dword v56, off, s[36:39], 0 offset:1392
	buffer_load_dword v57, off, s[36:39], 0 offset:1396
	;; [unrolled: 1-line block ×28, first 2 shown]
	s_waitcnt vmcnt(22)
	v_mul_f64 v[16:17], v[58:59], v[64:65]
	s_waitcnt vmcnt(16)
	v_mul_f64 v[18:19], v[54:55], v[8:9]
	;; [unrolled: 2-line block ×4, first 2 shown]
	v_mul_f64 v[24:25], v[54:55], v[10:11]
	v_mul_f64 v[26:27], v[58:59], v[66:67]
	;; [unrolled: 1-line block ×4, first 2 shown]
	s_waitcnt vmcnt(4)
	v_mul_f64 v[32:33], v[42:43], v[174:175]
	s_waitcnt vmcnt(0)
	v_mul_f64 v[34:35], v[46:47], v[6:7]
	v_mul_f64 v[36:37], v[46:47], v[4:5]
	;; [unrolled: 1-line block ×3, first 2 shown]
	v_fma_f64 v[16:17], v[56:57], v[66:67], -v[16:17]
	v_fma_f64 v[10:11], v[52:53], v[10:11], -v[18:19]
	v_fma_f64 v[18:19], v[60:61], v[178:179], -v[20:21]
	v_fma_f64 v[14:15], v[48:49], v[14:15], -v[22:23]
	v_fma_f64 v[8:9], v[52:53], v[8:9], v[24:25]
	v_fma_f64 v[20:21], v[56:57], v[64:65], v[26:27]
	;; [unrolled: 1-line block ×6, first 2 shown]
	v_fma_f64 v[6:7], v[44:45], v[6:7], -v[36:37]
	v_fma_f64 v[26:27], v[40:41], v[174:175], -v[38:39]
	v_add_f64 v[28:29], v[10:11], v[16:17]
	v_add_f64 v[10:11], v[10:11], -v[16:17]
	v_add_f64 v[30:31], v[14:15], v[18:19]
	v_add_f64 v[14:15], v[14:15], -v[18:19]
	;; [unrolled: 2-line block ×4, first 2 shown]
	v_add_f64 v[36:37], v[24:25], -v[4:5]
	v_add_f64 v[4:5], v[4:5], v[24:25]
	v_add_f64 v[22:23], v[6:7], v[26:27]
	v_add_f64 v[6:7], v[26:27], -v[6:7]
	v_add_f64 v[20:21], v[30:31], v[28:29]
	v_add_f64 v[42:43], v[14:15], -v[10:11]
	v_add_f64 v[16:17], v[34:35], v[32:33]
	v_add_f64 v[38:39], v[12:13], -v[8:9]
	v_add_f64 v[18:19], v[36:37], -v[12:13]
	v_add_f64 v[26:27], v[32:33], -v[4:5]
	;; [unrolled: 1-line block ×5, first 2 shown]
	v_add_f64 v[12:13], v[36:37], v[12:13]
	v_add_f64 v[14:15], v[6:7], v[14:15]
	v_add_f64 v[6:7], v[10:11], -v[6:7]
	v_add_f64 v[28:29], v[30:31], -v[28:29]
	;; [unrolled: 1-line block ×3, first 2 shown]
	v_add_f64 v[20:21], v[22:23], v[20:21]
	v_add_f64 v[22:23], v[22:23], -v[30:31]
	v_mul_f64 v[46:47], v[42:43], s[12:13]
	v_add_f64 v[16:17], v[4:5], v[16:17]
	v_add_f64 v[4:5], v[4:5], -v[34:35]
	v_mul_f64 v[18:19], v[18:19], s[16:17]
	v_mul_f64 v[26:27], v[26:27], s[2:3]
	;; [unrolled: 1-line block ×5, first 2 shown]
	v_add_f64 v[8:9], v[12:13], v[8:9]
	v_add_f64 v[10:11], v[14:15], v[10:11]
	;; [unrolled: 1-line block ×3, first 2 shown]
	v_mul_f64 v[30:31], v[22:23], s[4:5]
	v_add_f64 v[0:1], v[0:1], v[16:17]
	v_mul_f64 v[34:35], v[4:5], s[4:5]
	v_fma_f64 v[12:13], v[44:45], s[22:23], v[18:19]
	v_fma_f64 v[4:5], v[4:5], s[4:5], v[26:27]
	;; [unrolled: 1-line block ×3, first 2 shown]
	v_fma_f64 v[22:23], v[44:45], s[24:25], -v[36:37]
	v_fma_f64 v[18:19], v[38:39], s[12:13], -v[18:19]
	;; [unrolled: 1-line block ×5, first 2 shown]
	v_fma_f64 v[20:21], v[20:21], s[14:15], v[2:3]
	v_fma_f64 v[28:29], v[28:29], s[18:19], -v[30:31]
	v_fma_f64 v[30:31], v[6:7], s[22:23], v[40:41]
	v_fma_f64 v[6:7], v[6:7], s[24:25], -v[46:47]
	;; [unrolled: 2-line block ×3, first 2 shown]
	v_fma_f64 v[12:13], v[8:9], s[26:27], v[12:13]
	v_fma_f64 v[22:23], v[8:9], s[26:27], v[22:23]
	v_fma_f64 v[8:9], v[8:9], s[26:27], v[18:19]
	v_fma_f64 v[36:37], v[10:11], s[26:27], v[36:37]
	v_add_f64 v[24:25], v[24:25], v[20:21]
	v_add_f64 v[18:19], v[28:29], v[20:21]
	v_fma_f64 v[28:29], v[10:11], s[26:27], v[30:31]
	v_fma_f64 v[30:31], v[10:11], s[26:27], v[6:7]
	v_add_f64 v[4:5], v[4:5], v[16:17]
	v_add_f64 v[34:35], v[14:15], v[20:21]
	;; [unrolled: 1-line block ×5, first 2 shown]
	v_add_f64 v[22:23], v[24:25], -v[22:23]
	v_add_f64 v[14:15], v[18:19], -v[8:9]
	v_add_f64 v[18:19], v[8:9], v[18:19]
	v_add_f64 v[24:25], v[28:29], v[4:5]
	v_add_f64 v[4:5], v[4:5], -v[28:29]
	buffer_load_dword v29, off, s[36:39], 0 offset:1324 ; 4-byte Folded Reload
	v_add_f64 v[26:27], v[34:35], -v[12:13]
	v_add_f64 v[20:21], v[30:31], v[38:39]
	v_add_f64 v[16:17], v[32:33], -v[36:37]
	v_add_f64 v[6:7], v[12:13], v[34:35]
	v_add_f64 v[12:13], v[36:37], v[32:33]
	v_add_f64 v[8:9], v[38:39], -v[30:31]
	v_mov_b32_e32 v28, 4
	s_waitcnt vmcnt(0)
	v_lshlrev_b32_sdwa v28, v28, v29 dst_sel:DWORD dst_unused:UNUSED_PAD src0_sel:DWORD src1_sel:BYTE_0
	ds_write_b128 v28, v[0:3] offset:20160
	ds_write_b128 v28, v[24:27] offset:20880
	;; [unrolled: 1-line block ×7, first 2 shown]
.LBB0_29:
	s_or_b32 exec_lo, exec_lo, s1
	s_waitcnt lgkmcnt(0)
	s_barrier
	buffer_gl0_inv
	ds_read_b128 v[0:3], v156 offset:5040
	ds_read_b128 v[4:7], v156 offset:10080
	;; [unrolled: 1-line block ×14, first 2 shown]
	s_mov_b32 s0, 0x134454ff
	s_mov_b32 s1, 0xbfee6f0e
	;; [unrolled: 1-line block ×7, first 2 shown]
	s_waitcnt lgkmcnt(13)
	v_mul_f64 v[36:37], v[126:127], v[2:3]
	s_waitcnt lgkmcnt(12)
	v_mul_f64 v[42:43], v[118:119], v[4:5]
	v_mul_f64 v[38:39], v[126:127], v[0:1]
	;; [unrolled: 1-line block ×3, first 2 shown]
	s_waitcnt lgkmcnt(11)
	v_mul_f64 v[44:45], v[114:115], v[14:15]
	v_mul_f64 v[46:47], v[114:115], v[12:13]
	s_waitcnt lgkmcnt(10)
	v_mul_f64 v[48:49], v[110:111], v[18:19]
	v_mul_f64 v[50:51], v[110:111], v[16:17]
	;; [unrolled: 3-line block ×3, first 2 shown]
	s_waitcnt lgkmcnt(3)
	v_mul_f64 v[114:115], v[166:167], v[66:67]
	s_mov_b32 s14, s2
	s_mov_b32 s4, 0x372fe950
	;; [unrolled: 1-line block ×3, first 2 shown]
	v_fma_f64 v[72:73], v[124:125], v[0:1], v[36:37]
	v_fma_f64 v[60:61], v[116:117], v[6:7], -v[42:43]
	v_mul_f64 v[36:37], v[154:155], v[30:31]
	v_mul_f64 v[42:43], v[154:155], v[28:29]
	v_fma_f64 v[58:59], v[124:125], v[2:3], -v[38:39]
	v_mul_f64 v[0:1], v[98:99], v[26:27]
	v_mul_f64 v[2:3], v[98:99], v[24:25]
	v_fma_f64 v[74:75], v[116:117], v[4:5], v[40:41]
	v_fma_f64 v[76:77], v[112:113], v[12:13], v[44:45]
	v_fma_f64 v[62:63], v[112:113], v[14:15], -v[46:47]
	v_mul_f64 v[44:45], v[150:151], v[34:35]
	v_mul_f64 v[98:99], v[150:151], v[32:33]
	v_fma_f64 v[78:79], v[108:109], v[16:17], v[48:49]
	v_fma_f64 v[56:57], v[108:109], v[18:19], -v[50:51]
	v_fma_f64 v[50:51], v[160:161], v[20:21], v[88:89]
	v_fma_f64 v[38:39], v[160:161], v[22:23], -v[90:91]
	ds_read_b128 v[4:7], v156
	ds_read_b128 v[110:113], v156 offset:13104
	ds_read_b128 v[20:23], v156 offset:18144
	;; [unrolled: 1-line block ×3, first 2 shown]
	v_mul_f64 v[108:109], v[170:171], v[54:55]
	v_mul_f64 v[88:89], v[170:171], v[52:53]
	;; [unrolled: 1-line block ×3, first 2 shown]
	v_fma_f64 v[48:49], v[152:153], v[28:29], v[36:37]
	v_fma_f64 v[42:43], v[152:153], v[30:31], -v[42:43]
	s_clause 0x3
	buffer_load_dword v150, off, s[36:39], 0 offset:1308
	buffer_load_dword v151, off, s[36:39], 0 offset:1312
	;; [unrolled: 1-line block ×4, first 2 shown]
	v_fma_f64 v[46:47], v[96:97], v[24:25], v[0:1]
	v_fma_f64 v[40:41], v[96:97], v[26:27], -v[2:3]
	s_waitcnt lgkmcnt(6)
	v_mul_f64 v[24:25], v[102:103], v[70:71]
	v_mul_f64 v[26:27], v[102:103], v[68:69]
	v_add_f64 v[126:127], v[74:75], v[76:77]
	v_fma_f64 v[44:45], v[148:149], v[32:33], v[44:45]
	v_fma_f64 v[36:37], v[148:149], v[34:35], -v[98:99]
	s_waitcnt lgkmcnt(5)
	v_mul_f64 v[98:99], v[146:147], v[86:87]
	ds_read_b128 v[16:19], v156 offset:9072
	ds_read_b128 v[0:3], v156 offset:4032
	s_waitcnt lgkmcnt(4)
	v_mul_f64 v[118:119], v[142:143], v[110:111]
	v_fma_f64 v[34:35], v[164:165], v[64:65], v[114:115]
	v_mul_f64 v[64:65], v[142:143], v[112:113]
	v_fma_f64 v[32:33], v[168:169], v[52:53], v[108:109]
	v_mul_f64 v[52:53], v[146:147], v[84:85]
	v_fma_f64 v[28:29], v[168:169], v[54:55], -v[88:89]
	v_add_f64 v[54:55], v[4:5], v[72:73]
	v_fma_f64 v[30:31], v[164:165], v[66:67], -v[90:91]
	v_fma_f64 v[108:109], v[100:101], v[68:69], v[24:25]
	s_waitcnt lgkmcnt(3)
	v_mul_f64 v[24:25], v[122:123], v[22:23]
	v_fma_f64 v[88:89], v[100:101], v[70:71], -v[26:27]
	v_mul_f64 v[26:27], v[122:123], v[20:21]
	s_waitcnt lgkmcnt(2)
	v_mul_f64 v[68:69], v[94:95], v[14:15]
	v_fma_f64 v[66:67], v[144:145], v[84:85], v[98:99]
	s_waitcnt lgkmcnt(1)
	v_mul_f64 v[84:85], v[134:135], v[18:19]
	ds_read_b128 v[114:117], v156 offset:19152
	ds_read_b128 v[122:125], v156 offset:24192
	v_fma_f64 v[64:65], v[140:141], v[110:111], v[64:65]
	v_fma_f64 v[52:53], v[144:145], v[86:87], -v[52:53]
	v_mul_f64 v[86:87], v[138:139], v[10:11]
	v_add_f64 v[146:147], v[54:55], v[74:75]
	v_fma_f64 v[54:55], v[140:141], v[112:113], -v[118:119]
	v_fma_f64 v[112:113], v[126:127], -0.5, v[4:5]
	v_add_f64 v[118:119], v[58:59], -v[56:57]
	ds_read_b128 v[142:145], v156 offset:2016
	v_fma_f64 v[110:111], v[120:121], v[20:21], v[24:25]
	v_add_f64 v[20:21], v[60:61], v[62:63]
	v_fma_f64 v[70:71], v[92:93], v[12:13], v[68:69]
	s_waitcnt lgkmcnt(1)
	v_mul_f64 v[126:127], v[106:107], v[124:125]
	v_fma_f64 v[98:99], v[132:133], v[16:17], v[84:85]
	v_fma_f64 v[100:101], v[136:137], v[8:9], v[86:87]
	v_fma_f64 v[20:21], v[20:21], -0.5, v[6:7]
	s_waitcnt vmcnt(0)
	v_mul_f64 v[96:97], v[152:153], v[82:83]
	v_mul_f64 v[102:103], v[152:153], v[80:81]
	v_fma_f64 v[90:91], v[150:151], v[80:81], v[96:97]
	v_add_f64 v[96:97], v[72:73], v[78:79]
	v_mul_f64 v[80:81], v[94:95], v[12:13]
	v_mul_f64 v[94:95], v[134:135], v[16:17]
	;; [unrolled: 1-line block ×3, first 2 shown]
	v_fma_f64 v[82:83], v[150:151], v[82:83], -v[102:103]
	v_fma_f64 v[102:103], v[120:121], v[22:23], -v[26:27]
	v_mul_f64 v[22:23], v[130:131], v[116:117]
	v_mul_f64 v[12:13], v[106:107], v[122:123]
	v_add_f64 v[8:9], v[60:61], -v[62:63]
	v_mul_f64 v[120:121], v[130:131], v[114:115]
	v_fma_f64 v[16:17], v[118:119], s[0:1], v[112:113]
	v_add_f64 v[106:107], v[6:7], v[58:59]
	v_add_f64 v[130:131], v[78:79], -v[76:77]
	ds_read_b128 v[138:141], v156 offset:1008
	ds_read_b128 v[24:27], v156 offset:3024
	v_fma_f64 v[4:5], v[96:97], -0.5, v[4:5]
	v_fma_f64 v[68:69], v[92:93], v[14:15], -v[80:81]
	v_fma_f64 v[92:93], v[132:133], v[18:19], -v[94:95]
	;; [unrolled: 1-line block ×3, first 2 shown]
	v_add_f64 v[10:11], v[146:147], v[76:77]
	v_add_f64 v[14:15], v[58:59], v[56:57]
	v_add_f64 v[18:19], v[72:73], -v[74:75]
	v_add_f64 v[132:133], v[72:73], -v[78:79]
	v_fma_f64 v[96:97], v[128:129], v[114:115], v[22:23]
	v_fma_f64 v[80:81], v[104:105], v[122:123], v[126:127]
	v_add_f64 v[22:23], v[46:47], v[48:49]
	v_fma_f64 v[84:85], v[104:105], v[124:125], -v[12:13]
	v_fma_f64 v[12:13], v[118:119], s[12:13], v[112:113]
	v_add_f64 v[72:73], v[74:75], -v[72:73]
	v_add_f64 v[112:113], v[76:77], -v[78:79]
	;; [unrolled: 1-line block ×3, first 2 shown]
	v_fma_f64 v[86:87], v[128:129], v[116:117], -v[120:121]
	v_add_f64 v[116:117], v[56:57], -v[62:63]
	v_add_f64 v[120:121], v[38:39], -v[36:37]
	v_add_f64 v[122:123], v[40:41], v[42:43]
	v_add_f64 v[124:125], v[40:41], -v[42:43]
	v_add_f64 v[126:127], v[44:45], -v[48:49]
	v_fma_f64 v[104:105], v[8:9], s[12:13], v[4:5]
	v_fma_f64 v[114:115], v[8:9], s[0:1], v[4:5]
	s_waitcnt lgkmcnt(1)
	v_add_f64 v[128:129], v[140:141], v[38:39]
	v_add_f64 v[134:135], v[36:37], -v[42:43]
	v_add_f64 v[4:5], v[10:11], v[78:79]
	v_fma_f64 v[6:7], v[14:15], -0.5, v[6:7]
	v_fma_f64 v[10:11], v[8:9], s[2:3], v[16:17]
	v_add_f64 v[14:15], v[106:107], v[60:61]
	v_add_f64 v[16:17], v[18:19], v[130:131]
	;; [unrolled: 1-line block ×3, first 2 shown]
	v_fma_f64 v[76:77], v[132:133], s[12:13], v[20:21]
	v_add_f64 v[78:79], v[50:51], v[44:45]
	v_add_f64 v[106:107], v[58:59], -v[60:61]
	v_fma_f64 v[22:23], v[22:23], -0.5, v[138:139]
	v_fma_f64 v[8:9], v[8:9], s[14:15], v[12:13]
	v_add_f64 v[72:73], v[72:73], v[112:113]
	v_add_f64 v[58:59], v[60:61], -v[58:59]
	v_add_f64 v[60:61], v[62:63], -v[56:57]
	;; [unrolled: 1-line block ×3, first 2 shown]
	v_fma_f64 v[122:123], v[122:123], -0.5, v[140:141]
	v_add_f64 v[136:137], v[28:29], v[82:83]
	v_fma_f64 v[104:105], v[118:119], s[2:3], v[104:105]
	v_fma_f64 v[112:113], v[118:119], s[14:15], v[114:115]
	;; [unrolled: 1-line block ×4, first 2 shown]
	v_add_f64 v[14:15], v[14:15], v[62:63]
	v_fma_f64 v[62:63], v[74:75], s[12:13], v[6:7]
	v_add_f64 v[18:19], v[18:19], v[46:47]
	v_fma_f64 v[12:13], v[16:17], s[4:5], v[10:11]
	v_fma_f64 v[78:79], v[78:79], -0.5, v[138:139]
	v_fma_f64 v[10:11], v[74:75], s[14:15], v[76:77]
	v_add_f64 v[76:77], v[106:107], v[116:117]
	v_fma_f64 v[106:107], v[120:121], s[0:1], v[22:23]
	v_add_f64 v[116:117], v[50:51], -v[46:47]
	v_fma_f64 v[22:23], v[120:121], s[12:13], v[22:23]
	v_fma_f64 v[8:9], v[16:17], s[4:5], v[8:9]
	v_add_f64 v[58:59], v[58:59], v[60:61]
	v_add_f64 v[50:51], v[46:47], -v[50:51]
	v_add_f64 v[46:47], v[46:47], -v[48:49]
	;; [unrolled: 1-line block ×3, first 2 shown]
	v_fma_f64 v[20:21], v[72:73], s[4:5], v[104:105]
	v_fma_f64 v[16:17], v[72:73], s[4:5], v[112:113]
	;; [unrolled: 1-line block ×3, first 2 shown]
	v_add_f64 v[74:75], v[38:39], v[36:37]
	v_add_f64 v[114:115], v[48:49], -v[44:45]
	v_fma_f64 v[104:105], v[132:133], s[14:15], v[118:119]
	v_add_f64 v[118:119], v[30:31], v[88:89]
	v_add_f64 v[6:7], v[14:15], v[56:57]
	;; [unrolled: 1-line block ×3, first 2 shown]
	v_fma_f64 v[60:61], v[132:133], s[2:3], v[62:63]
	v_add_f64 v[62:63], v[18:19], v[48:49]
	v_fma_f64 v[112:113], v[124:125], s[12:13], v[78:79]
	v_fma_f64 v[78:79], v[124:125], s[0:1], v[78:79]
	;; [unrolled: 1-line block ×4, first 2 shown]
	v_add_f64 v[116:117], v[116:117], v[126:127]
	v_fma_f64 v[124:125], v[124:125], s[14:15], v[22:23]
	v_add_f64 v[126:127], v[128:129], v[40:41]
	v_fma_f64 v[128:129], v[130:131], s[12:13], v[122:123]
	v_add_f64 v[132:133], v[38:39], -v[40:41]
	v_fma_f64 v[122:123], v[130:131], s[0:1], v[122:123]
	v_add_f64 v[38:39], v[40:41], -v[38:39]
	v_fma_f64 v[136:137], v[136:137], -0.5, v[144:145]
	v_fma_f64 v[10:11], v[76:77], s[4:5], v[72:73]
	v_add_f64 v[72:73], v[142:143], v[32:33]
	v_fma_f64 v[74:75], v[74:75], -0.5, v[140:141]
	v_fma_f64 v[22:23], v[58:59], s[4:5], v[104:105]
	v_add_f64 v[104:105], v[28:29], -v[82:83]
	v_add_f64 v[50:51], v[50:51], v[114:115]
	v_fma_f64 v[76:77], v[56:57], -0.5, v[142:143]
	v_fma_f64 v[18:19], v[58:59], s[4:5], v[60:61]
	v_add_f64 v[44:45], v[62:63], v[44:45]
	v_add_f64 v[62:63], v[144:145], v[28:29]
	v_fma_f64 v[58:59], v[120:121], s[2:3], v[112:113]
	v_add_f64 v[60:61], v[32:33], v[90:91]
	v_fma_f64 v[112:113], v[118:119], -0.5, v[144:145]
	v_add_f64 v[118:119], v[32:33], -v[90:91]
	v_fma_f64 v[78:79], v[120:121], s[14:15], v[78:79]
	v_add_f64 v[114:115], v[126:127], v[42:43]
	v_fma_f64 v[48:49], v[116:117], s[4:5], v[106:107]
	v_fma_f64 v[56:57], v[116:117], s[4:5], v[124:125]
	v_add_f64 v[116:117], v[132:133], v[134:135]
	v_fma_f64 v[120:121], v[46:47], s[2:3], v[122:123]
	v_fma_f64 v[106:107], v[46:47], s[14:15], v[128:129]
	v_add_f64 v[42:43], v[42:43], -v[36:37]
	v_add_f64 v[126:127], v[30:31], -v[88:89]
	v_add_f64 v[72:73], v[72:73], v[34:35]
	v_fma_f64 v[122:123], v[46:47], s[0:1], v[74:75]
	v_add_f64 v[128:129], v[32:33], -v[34:35]
	v_add_f64 v[132:133], v[90:91], -v[108:109]
	v_fma_f64 v[74:75], v[46:47], s[12:13], v[74:75]
	v_fma_f64 v[124:125], v[104:105], s[0:1], v[76:77]
	;; [unrolled: 1-line block ×3, first 2 shown]
	v_add_f64 v[140:141], v[28:29], -v[30:31]
	v_add_f64 v[62:63], v[62:63], v[30:31]
	v_add_f64 v[34:35], v[34:35], -v[32:33]
	v_fma_f64 v[60:61], v[60:61], -0.5, v[142:143]
	v_add_f64 v[142:143], v[52:53], -v[68:69]
	v_fma_f64 v[134:135], v[118:119], s[12:13], v[112:113]
	v_fma_f64 v[40:41], v[50:51], s[4:5], v[78:79]
	v_add_f64 v[46:47], v[114:115], v[36:37]
	v_add_f64 v[114:115], v[82:83], -v[88:89]
	v_fma_f64 v[36:37], v[50:51], s[4:5], v[58:59]
	v_add_f64 v[78:79], v[64:65], v[110:111]
	v_fma_f64 v[58:59], v[116:117], s[4:5], v[120:121]
	v_add_f64 v[120:121], v[66:67], v[70:71]
	v_fma_f64 v[112:113], v[118:119], s[0:1], v[112:113]
	v_fma_f64 v[50:51], v[116:117], s[4:5], v[106:107]
	v_add_f64 v[72:73], v[72:73], v[108:109]
	v_fma_f64 v[106:107], v[130:131], s[14:15], v[122:123]
	v_add_f64 v[42:43], v[38:39], v[42:43]
	v_add_f64 v[122:123], v[128:129], v[132:133]
	v_fma_f64 v[74:75], v[130:131], s[2:3], v[74:75]
	v_fma_f64 v[116:117], v[126:127], s[2:3], v[124:125]
	;; [unrolled: 1-line block ×3, first 2 shown]
	v_add_f64 v[108:109], v[108:109], -v[90:91]
	v_add_f64 v[62:63], v[62:63], v[88:89]
	v_add_f64 v[128:129], v[54:55], v[102:103]
	v_fma_f64 v[124:125], v[126:127], s[12:13], v[60:61]
	v_fma_f64 v[126:127], v[126:127], s[0:1], v[60:61]
	v_fma_f64 v[130:131], v[138:139], s[14:15], v[134:135]
	v_add_f64 v[134:135], v[30:31], -v[28:29]
	v_fma_f64 v[132:133], v[138:139], s[0:1], v[136:137]
	v_add_f64 v[114:115], v[140:141], v[114:115]
	s_waitcnt lgkmcnt(0)
	v_add_f64 v[140:141], v[24:25], v[66:67]
	v_fma_f64 v[78:79], v[78:79], -0.5, v[24:25]
	v_add_f64 v[88:89], v[88:89], -v[82:83]
	v_fma_f64 v[24:25], v[120:121], -0.5, v[24:25]
	v_fma_f64 v[112:113], v[138:139], s[2:3], v[112:113]
	v_add_f64 v[28:29], v[72:73], v[90:91]
	v_add_f64 v[72:73], v[54:55], -v[102:103]
	v_fma_f64 v[38:39], v[42:43], s[4:5], v[106:107]
	v_add_f64 v[106:107], v[26:27], v[52:53]
	v_fma_f64 v[42:43], v[42:43], s[4:5], v[74:75]
	v_fma_f64 v[32:33], v[122:123], s[4:5], v[116:117]
	;; [unrolled: 1-line block ×4, first 2 shown]
	v_add_f64 v[30:31], v[62:63], v[82:83]
	v_add_f64 v[82:83], v[52:53], v[68:69]
	v_fma_f64 v[74:75], v[104:105], s[2:3], v[124:125]
	v_add_f64 v[90:91], v[34:35], v[108:109]
	v_fma_f64 v[108:109], v[128:129], -0.5, v[26:27]
	v_fma_f64 v[104:105], v[104:105], s[14:15], v[126:127]
	v_add_f64 v[124:125], v[66:67], -v[64:65]
	v_add_f64 v[126:127], v[70:71], -v[110:111]
	;; [unrolled: 1-line block ×3, first 2 shown]
	v_fma_f64 v[34:35], v[114:115], s[4:5], v[130:131]
	v_fma_f64 v[120:121], v[142:143], s[0:1], v[78:79]
	v_add_f64 v[122:123], v[100:101], v[96:97]
	v_fma_f64 v[62:63], v[114:115], s[4:5], v[112:113]
	v_fma_f64 v[112:113], v[118:119], s[14:15], v[132:133]
	v_add_f64 v[114:115], v[140:141], v[64:65]
	;; [unrolled: 3-line block ×3, first 2 shown]
	v_add_f64 v[66:67], v[64:65], -v[66:67]
	v_add_f64 v[132:133], v[110:111], -v[70:71]
	v_fma_f64 v[24:25], v[72:73], s[0:1], v[24:25]
	v_fma_f64 v[76:77], v[118:119], s[2:3], v[76:77]
	v_add_f64 v[118:119], v[94:95], v[86:87]
	v_add_f64 v[106:107], v[106:107], v[54:55]
	v_add_f64 v[64:65], v[64:65], -v[110:111]
	v_fma_f64 v[26:27], v[82:83], -0.5, v[26:27]
	v_add_f64 v[136:137], v[92:93], v[84:85]
	v_add_f64 v[140:141], v[0:1], v[98:99]
	;; [unrolled: 1-line block ×4, first 2 shown]
	v_fma_f64 v[134:135], v[116:117], s[12:13], v[108:109]
	v_add_f64 v[82:83], v[52:53], -v[54:55]
	v_add_f64 v[138:139], v[68:69], -v[102:103]
	v_fma_f64 v[108:109], v[116:117], s[0:1], v[108:109]
	v_add_f64 v[110:111], v[114:115], v[110:111]
	v_fma_f64 v[126:127], v[142:143], s[2:3], v[128:129]
	v_add_f64 v[128:129], v[2:3], v[92:93]
	v_fma_f64 v[114:115], v[72:73], s[2:3], v[120:121]
	v_fma_f64 v[120:121], v[122:123], -0.5, v[0:1]
	v_add_f64 v[122:123], v[92:93], -v[84:85]
	v_fma_f64 v[72:73], v[72:73], s[14:15], v[78:79]
	v_add_f64 v[78:79], v[94:95], -v[86:87]
	v_fma_f64 v[0:1], v[130:131], -0.5, v[0:1]
	v_add_f64 v[66:67], v[66:67], v[132:133]
	v_fma_f64 v[118:119], v[118:119], -0.5, v[2:3]
	v_add_f64 v[130:131], v[98:99], -v[80:81]
	v_fma_f64 v[132:133], v[142:143], s[14:15], v[24:25]
	v_add_f64 v[24:25], v[54:55], -v[52:53]
	v_add_f64 v[52:53], v[102:103], -v[68:69]
	v_add_f64 v[54:55], v[106:107], v[102:103]
	v_fma_f64 v[102:103], v[64:65], s[0:1], v[26:27]
	v_fma_f64 v[26:27], v[64:65], s[12:13], v[26:27]
	v_add_f64 v[106:107], v[100:101], -v[96:97]
	v_fma_f64 v[2:3], v[136:137], -0.5, v[2:3]
	v_add_f64 v[136:137], v[140:141], v[100:101]
	v_add_f64 v[140:141], v[98:99], -v[100:101]
	v_add_f64 v[142:143], v[80:81], -v[96:97]
	;; [unrolled: 1-line block ×3, first 2 shown]
	v_add_f64 v[100:101], v[128:129], v[94:95]
	v_fma_f64 v[134:135], v[64:65], s[14:15], v[134:135]
	v_add_f64 v[82:83], v[82:83], v[138:139]
	v_fma_f64 v[108:109], v[64:65], s[2:3], v[108:109]
	v_fma_f64 v[64:65], v[122:123], s[0:1], v[120:121]
	v_add_f64 v[128:129], v[92:93], -v[94:95]
	v_fma_f64 v[138:139], v[78:79], s[12:13], v[0:1]
	v_fma_f64 v[120:121], v[122:123], s[12:13], v[120:121]
	v_add_f64 v[92:93], v[94:95], -v[92:93]
	v_add_f64 v[94:95], v[96:97], -v[80:81]
	v_fma_f64 v[144:145], v[78:79], s[0:1], v[0:1]
	v_fma_f64 v[0:1], v[90:91], s[4:5], v[74:75]
	v_add_f64 v[146:147], v[24:25], v[52:53]
	v_fma_f64 v[52:53], v[130:131], s[12:13], v[118:119]
	v_fma_f64 v[102:103], v[116:117], s[14:15], v[102:103]
	;; [unrolled: 1-line block ×3, first 2 shown]
	v_add_f64 v[26:27], v[84:85], -v[86:87]
	v_fma_f64 v[118:119], v[130:131], s[0:1], v[118:119]
	v_add_f64 v[96:97], v[136:137], v[96:97]
	v_fma_f64 v[136:137], v[106:107], s[0:1], v[2:3]
	v_add_f64 v[140:141], v[140:141], v[142:143]
	v_add_f64 v[142:143], v[86:87], -v[84:85]
	v_fma_f64 v[2:3], v[106:107], s[12:13], v[2:3]
	v_add_f64 v[100:101], v[100:101], v[86:87]
	v_fma_f64 v[24:25], v[90:91], s[4:5], v[104:105]
	v_add_f64 v[54:55], v[54:55], v[68:69]
	v_fma_f64 v[148:149], v[78:79], s[2:3], v[64:65]
	v_fma_f64 v[64:65], v[124:125], s[4:5], v[114:115]
	;; [unrolled: 1-line block ×5, first 2 shown]
	v_add_f64 v[98:99], v[98:99], v[94:95]
	v_fma_f64 v[122:123], v[122:123], s[14:15], v[144:145]
	v_fma_f64 v[86:87], v[66:67], s[4:5], v[132:133]
	;; [unrolled: 1-line block ×4, first 2 shown]
	v_add_f64 v[52:53], v[110:111], v[70:71]
	v_fma_f64 v[70:71], v[124:125], s[4:5], v[72:73]
	v_add_f64 v[128:129], v[128:129], v[26:27]
	v_fma_f64 v[106:107], v[106:107], s[2:3], v[118:119]
	v_fma_f64 v[26:27], v[88:89], s[4:5], v[76:77]
	;; [unrolled: 1-line block ×4, first 2 shown]
	v_add_f64 v[136:137], v[92:93], v[142:143]
	v_fma_f64 v[130:131], v[130:131], s[2:3], v[2:3]
	v_fma_f64 v[2:3], v[88:89], s[4:5], v[112:113]
	;; [unrolled: 1-line block ×4, first 2 shown]
	v_add_f64 v[78:79], v[96:97], v[80:81]
	v_add_f64 v[80:81], v[100:101], v[84:85]
	v_fma_f64 v[82:83], v[140:141], s[4:5], v[148:149]
	v_fma_f64 v[90:91], v[140:141], s[4:5], v[120:121]
	s_mov_b32 s2, 0xae67b348
	v_fma_f64 v[94:95], v[98:99], s[4:5], v[104:105]
	v_fma_f64 v[98:99], v[98:99], s[4:5], v[122:123]
	s_mov_b32 s3, 0x3f44ce19
	s_mul_hi_u32 s1, s8, 0x20d
	v_fma_f64 v[84:85], v[128:129], s[4:5], v[138:139]
	v_fma_f64 v[92:93], v[128:129], s[4:5], v[106:107]
	;; [unrolled: 1-line block ×4, first 2 shown]
	ds_write_b128 v156, v[4:7]
	ds_write_b128 v156, v[12:15] offset:5040
	ds_write_b128 v156, v[20:23] offset:10080
	;; [unrolled: 1-line block ×24, first 2 shown]
	s_waitcnt lgkmcnt(0)
	s_barrier
	buffer_gl0_inv
	ds_read_b128 v[0:3], v156
	s_clause 0x3
	buffer_load_dword v20, off, s[36:39], 0 offset:172
	buffer_load_dword v21, off, s[36:39], 0 offset:176
	;; [unrolled: 1-line block ×4, first 2 shown]
	ds_read_b128 v[4:7], v156 offset:8400
	s_clause 0x1
	buffer_load_dword v10, off, s[36:39], 0 offset:60
	buffer_load_dword v11, off, s[36:39], 0 offset:64
	s_waitcnt vmcnt(2) lgkmcnt(1)
	v_mul_f64 v[8:9], v[22:23], v[2:3]
	v_mul_f64 v[16:17], v[22:23], v[0:1]
	s_waitcnt vmcnt(1)
	v_mov_b32_e32 v22, v10
	v_mad_u64_u32 v[18:19], null, s10, v22, 0
	v_fma_f64 v[0:1], v[20:21], v[0:1], v[8:9]
	s_waitcnt vmcnt(0)
	ds_read_b128 v[8:11], v156 offset:1008
	ds_read_b128 v[12:15], v156 offset:16800
	s_clause 0xc
	buffer_load_dword v25, off, s[36:39], 0
	buffer_load_dword v44, off, s[36:39], 0 offset:412
	buffer_load_dword v45, off, s[36:39], 0 offset:416
	;; [unrolled: 1-line block ×12, first 2 shown]
	v_fma_f64 v[2:3], v[20:21], v[2:3], -v[16:17]
	v_mul_f64 v[0:1], v[0:1], s[2:3]
	v_mul_f64 v[2:3], v[2:3], s[2:3]
	s_waitcnt vmcnt(12)
	v_mad_u64_u32 v[20:21], null, s8, v25, 0
	s_waitcnt vmcnt(8) lgkmcnt(2)
	v_mul_f64 v[16:17], v[46:47], v[6:7]
	s_waitcnt vmcnt(4) lgkmcnt(0)
	v_mul_f64 v[28:29], v[42:43], v[12:13]
	s_waitcnt vmcnt(0)
	v_mul_f64 v[30:31], v[38:39], v[10:11]
	v_mul_f64 v[32:33], v[38:39], v[8:9]
	v_mad_u64_u32 v[22:23], null, s11, v22, v[19:20]
	v_mov_b32_e32 v19, v21
	v_mul_f64 v[23:24], v[46:47], v[4:5]
	v_mad_u64_u32 v[25:26], null, s9, v25, v[19:20]
	v_mov_b32_e32 v19, v22
	v_mul_f64 v[26:27], v[42:43], v[14:15]
	v_mov_b32_e32 v21, v25
	v_fma_f64 v[34:35], v[44:45], v[4:5], v[16:17]
	v_lshlrev_b64 v[4:5], 4, v[18:19]
	ds_read_b128 v[16:19], v156 offset:9408
	v_fma_f64 v[28:29], v[40:41], v[14:15], -v[28:29]
	v_lshlrev_b64 v[20:21], 4, v[20:21]
	v_fma_f64 v[30:31], v[36:37], v[8:9], v[30:31]
	v_fma_f64 v[32:33], v[36:37], v[10:11], -v[32:33]
	v_add_co_u32 v4, s0, s6, v4
	v_add_co_ci_u32_e64 v5, s0, s7, v5, s0
	v_fma_f64 v[22:23], v[44:45], v[6:7], -v[23:24]
	v_add_co_u32 v24, s0, v4, v20
	v_add_co_ci_u32_e64 v25, s0, v5, v21, s0
	ds_read_b128 v[4:7], v156 offset:17808
	v_fma_f64 v[26:27], v[40:41], v[12:13], v[26:27]
	s_mul_i32 s0, s9, 0x20d
	global_store_dwordx4 v[24:25], v[0:3], off
	s_clause 0x3
	buffer_load_dword v38, off, s[36:39], 0 offset:380
	buffer_load_dword v39, off, s[36:39], 0 offset:384
	;; [unrolled: 1-line block ×4, first 2 shown]
	ds_read_b128 v[8:11], v156 offset:2016
	v_mul_f64 v[0:1], v[34:35], s[2:3]
	s_add_i32 s1, s1, s0
	s_mul_i32 s0, s8, 0x20d
	s_lshl_b64 s[4:5], s[0:1], 4
	s_mul_i32 s1, s9, 0xfffffc25
	v_mul_f64 v[2:3], v[22:23], s[2:3]
	ds_read_b128 v[12:15], v156 offset:10416
	ds_read_b128 v[20:23], v156 offset:18816
	s_clause 0x3
	buffer_load_dword v68, off, s[36:39], 0 offset:284
	buffer_load_dword v69, off, s[36:39], 0 offset:288
	;; [unrolled: 1-line block ×4, first 2 shown]
	s_waitcnt vmcnt(4) lgkmcnt(4)
	v_mul_f64 v[34:35], v[40:41], v[18:19]
	v_mul_f64 v[36:37], v[40:41], v[16:17]
	v_add_co_u32 v40, s0, v24, s4
	v_add_co_ci_u32_e64 v41, s0, s5, v25, s0
	v_mul_f64 v[24:25], v[26:27], s[2:3]
	v_mul_f64 v[26:27], v[28:29], s[2:3]
	;; [unrolled: 1-line block ×4, first 2 shown]
	s_mul_hi_u32 s0, s8, 0xfffffc25
	s_sub_i32 s6, s0, s8
	v_add_co_u32 v60, s0, v40, s4
	s_waitcnt vmcnt(0) lgkmcnt(3)
	v_mul_f64 v[42:43], v[70:71], v[6:7]
	v_mul_f64 v[44:45], v[70:71], v[4:5]
	v_add_co_ci_u32_e64 v61, s0, s5, v41, s0
	s_add_i32 s1, s6, s1
	s_mul_i32 s0, s8, 0xfffffc25
	v_fma_f64 v[46:47], v[38:39], v[16:17], v[34:35]
	ds_read_b128 v[32:35], v156 offset:3024
	s_clause 0x3
	buffer_load_dword v64, off, s[36:39], 0 offset:28
	buffer_load_dword v65, off, s[36:39], 0 offset:32
	;; [unrolled: 1-line block ×4, first 2 shown]
	v_fma_f64 v[50:51], v[38:39], v[18:19], -v[36:37]
	ds_read_b128 v[16:19], v156 offset:11424
	s_clause 0x3
	buffer_load_dword v70, off, s[36:39], 0 offset:332
	buffer_load_dword v71, off, s[36:39], 0 offset:336
	;; [unrolled: 1-line block ×4, first 2 shown]
	ds_read_b128 v[36:39], v156 offset:19824
	s_lshl_b64 s[6:7], s[0:1], 4
	v_fma_f64 v[4:5], v[68:69], v[4:5], v[42:43]
	v_add_co_u32 v42, s0, v60, s6
	v_add_co_ci_u32_e64 v43, s0, s7, v61, s0
	v_fma_f64 v[6:7], v[68:69], v[6:7], -v[44:45]
	v_mul_f64 v[4:5], v[4:5], s[2:3]
	v_mul_f64 v[6:7], v[6:7], s[2:3]
	s_waitcnt vmcnt(4) lgkmcnt(5)
	v_mul_f64 v[48:49], v[66:67], v[10:11]
	v_mul_f64 v[52:53], v[66:67], v[8:9]
	s_waitcnt vmcnt(0) lgkmcnt(4)
	v_mul_f64 v[54:55], v[72:73], v[14:15]
	v_mul_f64 v[56:57], v[72:73], v[12:13]
	s_clause 0x3
	buffer_load_dword v72, off, s[36:39], 0 offset:348
	buffer_load_dword v73, off, s[36:39], 0 offset:352
	;; [unrolled: 1-line block ×4, first 2 shown]
	global_store_dwordx4 v[40:41], v[0:3], off
	global_store_dwordx4 v[60:61], v[24:27], off
	;; [unrolled: 1-line block ×3, first 2 shown]
	v_mul_f64 v[0:1], v[46:47], s[2:3]
	v_mul_f64 v[2:3], v[50:51], s[2:3]
	v_fma_f64 v[44:45], v[64:65], v[8:9], v[48:49]
	v_fma_f64 v[40:41], v[64:65], v[10:11], -v[52:53]
	ds_read_b128 v[8:11], v156 offset:4032
	v_fma_f64 v[24:25], v[70:71], v[12:13], v[54:55]
	v_fma_f64 v[26:27], v[70:71], v[14:15], -v[56:57]
	v_add_co_u32 v52, s0, v42, s4
	v_add_co_ci_u32_e64 v53, s0, s5, v43, s0
	v_add_co_u32 v54, s0, v52, s4
	v_add_co_ci_u32_e64 v55, s0, s5, v53, s0
	v_mul_f64 v[12:13], v[44:45], s[2:3]
	v_mul_f64 v[14:15], v[40:41], s[2:3]
	;; [unrolled: 1-line block ×4, first 2 shown]
	s_waitcnt vmcnt(0) lgkmcnt(4)
	v_mul_f64 v[58:59], v[74:75], v[22:23]
	v_mul_f64 v[62:63], v[74:75], v[20:21]
	v_fma_f64 v[28:29], v[72:73], v[20:21], v[58:59]
	v_fma_f64 v[30:31], v[72:73], v[22:23], -v[62:63]
	ds_read_b128 v[20:23], v156 offset:12432
	s_clause 0xb
	buffer_load_dword v88, off, s[36:39], 0 offset:156
	buffer_load_dword v89, off, s[36:39], 0 offset:160
	;; [unrolled: 1-line block ×12, first 2 shown]
	ds_read_b128 v[40:43], v156 offset:5040
	v_add_co_u32 v58, s0, v54, s6
	v_add_co_ci_u32_e64 v59, s0, s7, v55, s0
	v_add_co_u32 v76, s0, v58, s4
	v_add_co_ci_u32_e64 v77, s0, s5, v59, s0
	v_mul_f64 v[28:29], v[28:29], s[2:3]
	v_mul_f64 v[30:31], v[30:31], s[2:3]
	s_waitcnt vmcnt(8) lgkmcnt(5)
	v_mul_f64 v[56:57], v[90:91], v[32:33]
	v_mul_f64 v[48:49], v[90:91], v[34:35]
	s_waitcnt vmcnt(0) lgkmcnt(3)
	v_mul_f64 v[64:65], v[80:81], v[38:39]
	v_mul_f64 v[66:67], v[80:81], v[36:37]
	s_clause 0x3
	buffer_load_dword v80, off, s[36:39], 0 offset:116
	buffer_load_dword v81, off, s[36:39], 0 offset:120
	;; [unrolled: 1-line block ×4, first 2 shown]
	v_mul_f64 v[60:61], v[86:87], v[18:19]
	ds_read_b128 v[44:47], v156 offset:13440
	s_clause 0x3
	buffer_load_dword v90, off, s[36:39], 0 offset:364
	buffer_load_dword v91, off, s[36:39], 0 offset:368
	buffer_load_dword v92, off, s[36:39], 0 offset:372
	buffer_load_dword v93, off, s[36:39], 0 offset:376
	v_mul_f64 v[62:63], v[86:87], v[16:17]
	v_fma_f64 v[34:35], v[88:89], v[34:35], -v[56:57]
	v_add_co_u32 v56, s0, v76, s4
	v_add_co_ci_u32_e64 v57, s0, s5, v77, s0
	v_fma_f64 v[32:33], v[88:89], v[32:33], v[48:49]
	ds_read_b128 v[48:51], v156 offset:20832
	global_store_dwordx4 v[52:53], v[0:3], off
	global_store_dwordx4 v[54:55], v[4:7], off
	;; [unrolled: 1-line block ×5, first 2 shown]
	v_fma_f64 v[16:17], v[84:85], v[16:17], v[60:61]
	ds_read_b128 v[0:3], v156 offset:21840
	s_clause 0x7
	buffer_load_dword v58, off, s[36:39], 0 offset:316
	buffer_load_dword v59, off, s[36:39], 0 offset:320
	;; [unrolled: 1-line block ×8, first 2 shown]
	v_fma_f64 v[18:19], v[84:85], v[18:19], -v[62:63]
	v_fma_f64 v[12:13], v[78:79], v[36:37], v[64:65]
	v_fma_f64 v[14:15], v[78:79], v[38:39], -v[66:67]
	v_mul_f64 v[6:7], v[34:35], s[2:3]
	v_mul_f64 v[4:5], v[32:33], s[2:3]
	v_add_co_u32 v32, s0, v56, s6
	v_add_co_ci_u32_e64 v33, s0, s7, v57, s0
	v_add_co_u32 v36, s0, v32, s4
	v_mul_f64 v[12:13], v[12:13], s[2:3]
	v_mul_f64 v[14:15], v[14:15], s[2:3]
	v_add_co_ci_u32_e64 v37, s0, s5, v33, s0
	global_store_dwordx4 v[32:33], v[4:7], off
	s_waitcnt vmcnt(12) lgkmcnt(5)
	v_mul_f64 v[68:69], v[82:83], v[10:11]
	v_mul_f64 v[70:71], v[82:83], v[8:9]
	s_waitcnt vmcnt(8) lgkmcnt(4)
	v_mul_f64 v[72:73], v[92:93], v[22:23]
	v_mul_f64 v[74:75], v[92:93], v[20:21]
	v_fma_f64 v[24:25], v[80:81], v[8:9], v[68:69]
	v_fma_f64 v[26:27], v[80:81], v[10:11], -v[70:71]
	v_mul_f64 v[8:9], v[16:17], s[2:3]
	v_fma_f64 v[20:21], v[90:91], v[20:21], v[72:73]
	v_fma_f64 v[22:23], v[90:91], v[22:23], -v[74:75]
	v_mul_f64 v[10:11], v[18:19], s[2:3]
	s_waitcnt vmcnt(4) lgkmcnt(1)
	v_mul_f64 v[28:29], v[60:61], v[50:51]
	v_mul_f64 v[30:31], v[60:61], v[48:49]
	s_waitcnt vmcnt(0)
	v_mul_f64 v[34:35], v[54:55], v[42:43]
	v_mul_f64 v[38:39], v[54:55], v[40:41]
	;; [unrolled: 1-line block ×6, first 2 shown]
	v_fma_f64 v[24:25], v[58:59], v[48:49], v[28:29]
	v_fma_f64 v[26:27], v[58:59], v[50:51], -v[30:31]
	v_fma_f64 v[32:33], v[52:53], v[40:41], v[34:35]
	v_fma_f64 v[38:39], v[52:53], v[42:43], -v[38:39]
	s_clause 0x3
	buffer_load_dword v52, off, s[36:39], 0 offset:84
	buffer_load_dword v53, off, s[36:39], 0 offset:88
	buffer_load_dword v54, off, s[36:39], 0 offset:92
	buffer_load_dword v55, off, s[36:39], 0 offset:96
	v_add_co_u32 v28, s0, v36, s4
	v_add_co_ci_u32_e64 v29, s0, s5, v37, s0
	global_store_dwordx4 v[36:37], v[8:11], off
	global_store_dwordx4 v[28:29], v[12:15], off
	v_add_co_u32 v30, s0, v28, s6
	v_add_co_ci_u32_e64 v31, s0, s7, v29, s0
	ds_read_b128 v[4:7], v156 offset:6048
	v_add_co_u32 v34, s0, v30, s4
	v_add_co_ci_u32_e64 v35, s0, s5, v31, s0
	global_store_dwordx4 v[30:31], v[16:19], off
	global_store_dwordx4 v[34:35], v[20:23], off
	v_add_co_u32 v50, s0, v34, s4
	v_mul_f64 v[8:9], v[24:25], s[2:3]
	v_mul_f64 v[10:11], v[26:27], s[2:3]
	s_clause 0x3
	buffer_load_dword v56, off, s[36:39], 0 offset:68
	buffer_load_dword v57, off, s[36:39], 0 offset:72
	;; [unrolled: 1-line block ×4, first 2 shown]
	ds_read_b128 v[12:15], v156 offset:14448
	ds_read_b128 v[16:19], v156 offset:22848
	;; [unrolled: 1-line block ×3, first 2 shown]
	v_add_co_ci_u32_e64 v51, s0, s5, v35, s0
	ds_read_b128 v[24:27], v156 offset:15456
	v_mul_f64 v[28:29], v[32:33], s[2:3]
	ds_read_b128 v[32:35], v156 offset:23856
	s_clause 0x7
	buffer_load_dword v72, off, s[36:39], 0 offset:44
	buffer_load_dword v73, off, s[36:39], 0 offset:48
	;; [unrolled: 1-line block ×8, first 2 shown]
	v_mul_f64 v[30:31], v[38:39], s[2:3]
	s_waitcnt vmcnt(12)
	v_mul_f64 v[40:41], v[54:55], v[46:47]
	v_mul_f64 v[42:43], v[54:55], v[44:45]
	v_fma_f64 v[38:39], v[52:53], v[44:45], v[40:41]
	v_fma_f64 v[40:41], v[52:53], v[46:47], -v[42:43]
	s_waitcnt vmcnt(8) lgkmcnt(6)
	v_mul_f64 v[36:37], v[58:59], v[2:3]
	v_mul_f64 v[48:49], v[58:59], v[0:1]
	v_add_co_u32 v46, s0, v50, s6
	v_add_co_ci_u32_e64 v47, s0, s7, v51, s0
	s_waitcnt vmcnt(4) lgkmcnt(5)
	v_mul_f64 v[42:43], v[74:75], v[6:7]
	v_mul_f64 v[44:45], v[74:75], v[4:5]
	s_waitcnt vmcnt(0) lgkmcnt(4)
	v_mul_f64 v[52:53], v[80:81], v[14:15]
	v_mul_f64 v[54:55], v[80:81], v[12:13]
	s_clause 0x7
	buffer_load_dword v74, off, s[36:39], 0 offset:188
	buffer_load_dword v75, off, s[36:39], 0 offset:192
	;; [unrolled: 1-line block ×8, first 2 shown]
	v_fma_f64 v[36:37], v[56:57], v[0:1], v[36:37]
	v_fma_f64 v[48:49], v[56:57], v[2:3], -v[48:49]
	v_mul_f64 v[0:1], v[38:39], s[2:3]
	v_add_co_u32 v38, s0, v46, s4
	v_add_co_ci_u32_e64 v39, s0, s5, v47, s0
	v_mul_f64 v[2:3], v[40:41], s[2:3]
	v_fma_f64 v[12:13], v[78:79], v[12:13], v[52:53]
	v_fma_f64 v[14:15], v[78:79], v[14:15], -v[54:55]
	v_mul_f64 v[12:13], v[12:13], s[2:3]
	v_mul_f64 v[14:15], v[14:15], s[2:3]
	s_waitcnt vmcnt(4) lgkmcnt(3)
	v_mul_f64 v[56:57], v[76:77], v[18:19]
	s_waitcnt vmcnt(0) lgkmcnt(2)
	v_mul_f64 v[60:61], v[82:83], v[22:23]
	v_mul_f64 v[62:63], v[82:83], v[20:21]
	s_clause 0x3
	buffer_load_dword v82, off, s[36:39], 0 offset:252
	buffer_load_dword v83, off, s[36:39], 0 offset:256
	;; [unrolled: 1-line block ×4, first 2 shown]
	v_mul_f64 v[58:59], v[76:77], v[16:17]
	v_fma_f64 v[16:17], v[74:75], v[16:17], v[56:57]
	v_fma_f64 v[20:21], v[80:81], v[20:21], v[60:61]
	v_fma_f64 v[22:23], v[80:81], v[22:23], -v[62:63]
	v_fma_f64 v[18:19], v[74:75], v[18:19], -v[58:59]
	v_mul_f64 v[16:17], v[16:17], s[2:3]
	v_mul_f64 v[20:21], v[20:21], s[2:3]
	;; [unrolled: 1-line block ×4, first 2 shown]
	s_waitcnt vmcnt(0) lgkmcnt(1)
	v_mul_f64 v[64:65], v[84:85], v[26:27]
	v_mul_f64 v[66:67], v[84:85], v[24:25]
	s_clause 0x3
	buffer_load_dword v84, off, s[36:39], 0 offset:268
	buffer_load_dword v85, off, s[36:39], 0 offset:272
	;; [unrolled: 1-line block ×4, first 2 shown]
	global_store_dwordx4 v[50:51], v[8:11], off
	global_store_dwordx4 v[46:47], v[28:31], off
	v_fma_f64 v[8:9], v[72:73], v[4:5], v[42:43]
	v_fma_f64 v[10:11], v[72:73], v[6:7], -v[44:45]
	v_mul_f64 v[4:5], v[36:37], s[2:3]
	v_mul_f64 v[6:7], v[48:49], s[2:3]
	global_store_dwordx4 v[38:39], v[0:3], off
	v_fma_f64 v[24:25], v[82:83], v[24:25], v[64:65]
	v_fma_f64 v[26:27], v[82:83], v[26:27], -v[66:67]
	v_mul_f64 v[8:9], v[8:9], s[2:3]
	v_mul_f64 v[10:11], v[10:11], s[2:3]
	;; [unrolled: 1-line block ×4, first 2 shown]
	s_waitcnt vmcnt(0) lgkmcnt(0)
	v_mul_f64 v[68:69], v[86:87], v[34:35]
	v_mul_f64 v[70:71], v[86:87], v[32:33]
	v_fma_f64 v[28:29], v[84:85], v[32:33], v[68:69]
	v_fma_f64 v[30:31], v[84:85], v[34:35], -v[70:71]
	v_add_co_u32 v32, s0, v38, s4
	v_add_co_ci_u32_e64 v33, s0, s5, v39, s0
	v_add_co_u32 v34, s0, v32, s6
	v_add_co_ci_u32_e64 v35, s0, s7, v33, s0
	global_store_dwordx4 v[32:33], v[4:7], off
	v_add_co_u32 v36, s0, v34, s4
	v_add_co_ci_u32_e64 v37, s0, s5, v35, s0
	global_store_dwordx4 v[34:35], v[8:11], off
	v_add_co_u32 v40, s0, v36, s4
	v_add_co_ci_u32_e64 v41, s0, s5, v37, s0
	v_mul_f64 v[28:29], v[28:29], s[2:3]
	v_mul_f64 v[30:31], v[30:31], s[2:3]
	v_add_co_u32 v2, s0, v40, s6
	v_add_co_ci_u32_e64 v3, s0, s7, v41, s0
	v_add_co_u32 v4, s0, v2, s4
	v_add_co_ci_u32_e64 v5, s0, s5, v3, s0
	;; [unrolled: 2-line block ×3, first 2 shown]
	global_store_dwordx4 v[36:37], v[12:15], off
	global_store_dwordx4 v[40:41], v[16:19], off
	;; [unrolled: 1-line block ×5, first 2 shown]
	s_and_b32 exec_lo, exec_lo, vcc_lo
	s_cbranch_execz .LBB0_31
; %bb.30:
	s_clause 0x1
	buffer_load_dword v2, off, s[36:39], 0 offset:148
	buffer_load_dword v3, off, s[36:39], 0 offset:152
	s_waitcnt vmcnt(0)
	global_load_dwordx4 v[2:5], v[2:3], off offset:1920
	ds_read_b128 v[6:9], v156 offset:8064
	ds_read_b128 v[10:13], v156 offset:16464
	s_waitcnt vmcnt(0) lgkmcnt(1)
	v_mul_f64 v[14:15], v[8:9], v[4:5]
	v_mul_f64 v[4:5], v[6:7], v[4:5]
	v_fma_f64 v[6:7], v[6:7], v[2:3], v[14:15]
	v_fma_f64 v[4:5], v[2:3], v[8:9], -v[4:5]
	v_mul_f64 v[2:3], v[6:7], s[2:3]
	v_mul_f64 v[4:5], v[4:5], s[2:3]
	v_add_co_u32 v6, vcc_lo, v0, s6
	v_add_co_ci_u32_e32 v7, vcc_lo, s7, v1, vcc_lo
	v_add_co_u32 v8, vcc_lo, v6, s4
	v_add_co_ci_u32_e32 v9, vcc_lo, s5, v7, vcc_lo
	global_store_dwordx4 v[6:7], v[2:5], off
	s_clause 0x1
	buffer_load_dword v0, off, s[36:39], 0 offset:20
	buffer_load_dword v1, off, s[36:39], 0 offset:24
	s_waitcnt vmcnt(0)
	global_load_dwordx4 v[0:3], v[0:1], off offset:80
	s_waitcnt vmcnt(0) lgkmcnt(0)
	v_mul_f64 v[4:5], v[12:13], v[2:3]
	v_mul_f64 v[2:3], v[10:11], v[2:3]
	v_fma_f64 v[4:5], v[10:11], v[0:1], v[4:5]
	v_fma_f64 v[2:3], v[0:1], v[12:13], -v[2:3]
	v_mul_f64 v[0:1], v[4:5], s[2:3]
	v_mul_f64 v[2:3], v[2:3], s[2:3]
	global_store_dwordx4 v[8:9], v[0:3], off
	s_clause 0x1
	buffer_load_dword v0, off, s[36:39], 0 offset:1428
	buffer_load_dword v1, off, s[36:39], 0 offset:1432
	ds_read_b128 v[4:7], v156 offset:24864
	s_waitcnt vmcnt(0)
	global_load_dwordx4 v[0:3], v[0:1], off offset:288
	s_waitcnt vmcnt(0) lgkmcnt(0)
	v_mul_f64 v[10:11], v[6:7], v[2:3]
	v_mul_f64 v[2:3], v[4:5], v[2:3]
	v_fma_f64 v[4:5], v[4:5], v[0:1], v[10:11]
	v_fma_f64 v[2:3], v[0:1], v[6:7], -v[2:3]
	v_mul_f64 v[0:1], v[4:5], s[2:3]
	v_mul_f64 v[2:3], v[2:3], s[2:3]
	v_add_co_u32 v4, vcc_lo, v8, s4
	v_add_co_ci_u32_e32 v5, vcc_lo, s5, v9, vcc_lo
	global_store_dwordx4 v[4:5], v[0:3], off
.LBB0_31:
	s_endpgm
	.section	.rodata,"a",@progbits
	.p2align	6, 0x0
	.amdhsa_kernel bluestein_single_fwd_len1575_dim1_dp_op_CI_CI
		.amdhsa_group_segment_fixed_size 25200
		.amdhsa_private_segment_fixed_size 1440
		.amdhsa_kernarg_size 104
		.amdhsa_user_sgpr_count 6
		.amdhsa_user_sgpr_private_segment_buffer 1
		.amdhsa_user_sgpr_dispatch_ptr 0
		.amdhsa_user_sgpr_queue_ptr 0
		.amdhsa_user_sgpr_kernarg_segment_ptr 1
		.amdhsa_user_sgpr_dispatch_id 0
		.amdhsa_user_sgpr_flat_scratch_init 0
		.amdhsa_user_sgpr_private_segment_size 0
		.amdhsa_wavefront_size32 1
		.amdhsa_uses_dynamic_stack 0
		.amdhsa_system_sgpr_private_segment_wavefront_offset 1
		.amdhsa_system_sgpr_workgroup_id_x 1
		.amdhsa_system_sgpr_workgroup_id_y 0
		.amdhsa_system_sgpr_workgroup_id_z 0
		.amdhsa_system_sgpr_workgroup_info 0
		.amdhsa_system_vgpr_workitem_id 0
		.amdhsa_next_free_vgpr 256
		.amdhsa_next_free_sgpr 40
		.amdhsa_reserve_vcc 1
		.amdhsa_reserve_flat_scratch 0
		.amdhsa_float_round_mode_32 0
		.amdhsa_float_round_mode_16_64 0
		.amdhsa_float_denorm_mode_32 3
		.amdhsa_float_denorm_mode_16_64 3
		.amdhsa_dx10_clamp 1
		.amdhsa_ieee_mode 1
		.amdhsa_fp16_overflow 0
		.amdhsa_workgroup_processor_mode 1
		.amdhsa_memory_ordered 1
		.amdhsa_forward_progress 0
		.amdhsa_shared_vgpr_count 0
		.amdhsa_exception_fp_ieee_invalid_op 0
		.amdhsa_exception_fp_denorm_src 0
		.amdhsa_exception_fp_ieee_div_zero 0
		.amdhsa_exception_fp_ieee_overflow 0
		.amdhsa_exception_fp_ieee_underflow 0
		.amdhsa_exception_fp_ieee_inexact 0
		.amdhsa_exception_int_div_zero 0
	.end_amdhsa_kernel
	.text
.Lfunc_end0:
	.size	bluestein_single_fwd_len1575_dim1_dp_op_CI_CI, .Lfunc_end0-bluestein_single_fwd_len1575_dim1_dp_op_CI_CI
                                        ; -- End function
	.section	.AMDGPU.csdata,"",@progbits
; Kernel info:
; codeLenInByte = 45152
; NumSgprs: 42
; NumVgprs: 256
; ScratchSize: 1440
; MemoryBound: 0
; FloatMode: 240
; IeeeMode: 1
; LDSByteSize: 25200 bytes/workgroup (compile time only)
; SGPRBlocks: 5
; VGPRBlocks: 31
; NumSGPRsForWavesPerEU: 42
; NumVGPRsForWavesPerEU: 256
; Occupancy: 3
; WaveLimiterHint : 1
; COMPUTE_PGM_RSRC2:SCRATCH_EN: 1
; COMPUTE_PGM_RSRC2:USER_SGPR: 6
; COMPUTE_PGM_RSRC2:TRAP_HANDLER: 0
; COMPUTE_PGM_RSRC2:TGID_X_EN: 1
; COMPUTE_PGM_RSRC2:TGID_Y_EN: 0
; COMPUTE_PGM_RSRC2:TGID_Z_EN: 0
; COMPUTE_PGM_RSRC2:TIDIG_COMP_CNT: 0
	.text
	.p2alignl 6, 3214868480
	.fill 48, 4, 3214868480
	.type	__hip_cuid_3a424b0a887b0a78,@object ; @__hip_cuid_3a424b0a887b0a78
	.section	.bss,"aw",@nobits
	.globl	__hip_cuid_3a424b0a887b0a78
__hip_cuid_3a424b0a887b0a78:
	.byte	0                               ; 0x0
	.size	__hip_cuid_3a424b0a887b0a78, 1

	.ident	"AMD clang version 19.0.0git (https://github.com/RadeonOpenCompute/llvm-project roc-6.4.0 25133 c7fe45cf4b819c5991fe208aaa96edf142730f1d)"
	.section	".note.GNU-stack","",@progbits
	.addrsig
	.addrsig_sym __hip_cuid_3a424b0a887b0a78
	.amdgpu_metadata
---
amdhsa.kernels:
  - .args:
      - .actual_access:  read_only
        .address_space:  global
        .offset:         0
        .size:           8
        .value_kind:     global_buffer
      - .actual_access:  read_only
        .address_space:  global
        .offset:         8
        .size:           8
        .value_kind:     global_buffer
      - .actual_access:  read_only
        .address_space:  global
        .offset:         16
        .size:           8
        .value_kind:     global_buffer
      - .actual_access:  read_only
        .address_space:  global
        .offset:         24
        .size:           8
        .value_kind:     global_buffer
      - .actual_access:  read_only
        .address_space:  global
        .offset:         32
        .size:           8
        .value_kind:     global_buffer
      - .offset:         40
        .size:           8
        .value_kind:     by_value
      - .address_space:  global
        .offset:         48
        .size:           8
        .value_kind:     global_buffer
      - .address_space:  global
        .offset:         56
        .size:           8
        .value_kind:     global_buffer
      - .address_space:  global
        .offset:         64
        .size:           8
        .value_kind:     global_buffer
      - .address_space:  global
        .offset:         72
        .size:           8
        .value_kind:     global_buffer
      - .offset:         80
        .size:           4
        .value_kind:     by_value
      - .address_space:  global
        .offset:         88
        .size:           8
        .value_kind:     global_buffer
      - .address_space:  global
        .offset:         96
        .size:           8
        .value_kind:     global_buffer
    .group_segment_fixed_size: 25200
    .kernarg_segment_align: 8
    .kernarg_segment_size: 104
    .language:       OpenCL C
    .language_version:
      - 2
      - 0
    .max_flat_workgroup_size: 63
    .name:           bluestein_single_fwd_len1575_dim1_dp_op_CI_CI
    .private_segment_fixed_size: 1440
    .sgpr_count:     42
    .sgpr_spill_count: 0
    .symbol:         bluestein_single_fwd_len1575_dim1_dp_op_CI_CI.kd
    .uniform_work_group_size: 1
    .uses_dynamic_stack: false
    .vgpr_count:     256
    .vgpr_spill_count: 363
    .wavefront_size: 32
    .workgroup_processor_mode: 1
amdhsa.target:   amdgcn-amd-amdhsa--gfx1030
amdhsa.version:
  - 1
  - 2
...

	.end_amdgpu_metadata
